;; amdgpu-corpus repo=ROCm/hip-tests kind=compiled arch=gfx906 opt=O3
	.amdgcn_target "amdgcn-amd-amdhsa--gfx906"
	.amdhsa_code_object_version 6
	.section	.text._Z17testOperationsGPUI15HIP_vector_typeIdLj1EES1_EvPT_S3_i,"axG",@progbits,_Z17testOperationsGPUI15HIP_vector_typeIdLj1EES1_EvPT_S3_i,comdat
	.protected	_Z17testOperationsGPUI15HIP_vector_typeIdLj1EES1_EvPT_S3_i ; -- Begin function _Z17testOperationsGPUI15HIP_vector_typeIdLj1EES1_EvPT_S3_i
	.globl	_Z17testOperationsGPUI15HIP_vector_typeIdLj1EES1_EvPT_S3_i
	.p2align	8
	.type	_Z17testOperationsGPUI15HIP_vector_typeIdLj1EES1_EvPT_S3_i,@function
_Z17testOperationsGPUI15HIP_vector_typeIdLj1EES1_EvPT_S3_i: ; @_Z17testOperationsGPUI15HIP_vector_typeIdLj1EES1_EvPT_S3_i
; %bb.0:
	s_load_dword s0, s[4:5], 0x10
	s_waitcnt lgkmcnt(0)
	v_cmp_ge_i32_e32 vcc, s0, v0
	s_and_saveexec_b64 s[0:1], vcc
	s_cbranch_execz .LBB0_2
; %bb.1:
	s_load_dwordx4 s[0:3], s[4:5], 0x0
	v_lshlrev_b32_e32 v4, 3, v0
	s_waitcnt lgkmcnt(0)
	global_load_dwordx2 v[0:1], v4, s[2:3]
	global_load_dwordx2 v[2:3], v4, s[0:1]
	s_waitcnt vmcnt(0)
	v_add_f64 v[0:1], v[0:1], v[2:3]
	v_add_f64 v[0:1], v[0:1], 1.0
	global_store_dwordx2 v4, v[0:1], s[0:1]
	global_load_dwordx2 v[0:1], v4, s[2:3]
	s_waitcnt vmcnt(0)
	v_add_f64 v[0:1], v[0:1], 1.0
	global_store_dwordx2 v4, v[0:1], s[2:3]
.LBB0_2:
	s_endpgm
	.section	.rodata,"a",@progbits
	.p2align	6, 0x0
	.amdhsa_kernel _Z17testOperationsGPUI15HIP_vector_typeIdLj1EES1_EvPT_S3_i
		.amdhsa_group_segment_fixed_size 0
		.amdhsa_private_segment_fixed_size 0
		.amdhsa_kernarg_size 20
		.amdhsa_user_sgpr_count 6
		.amdhsa_user_sgpr_private_segment_buffer 1
		.amdhsa_user_sgpr_dispatch_ptr 0
		.amdhsa_user_sgpr_queue_ptr 0
		.amdhsa_user_sgpr_kernarg_segment_ptr 1
		.amdhsa_user_sgpr_dispatch_id 0
		.amdhsa_user_sgpr_flat_scratch_init 0
		.amdhsa_user_sgpr_private_segment_size 0
		.amdhsa_uses_dynamic_stack 0
		.amdhsa_system_sgpr_private_segment_wavefront_offset 0
		.amdhsa_system_sgpr_workgroup_id_x 1
		.amdhsa_system_sgpr_workgroup_id_y 0
		.amdhsa_system_sgpr_workgroup_id_z 0
		.amdhsa_system_sgpr_workgroup_info 0
		.amdhsa_system_vgpr_workitem_id 0
		.amdhsa_next_free_vgpr 5
		.amdhsa_next_free_sgpr 6
		.amdhsa_reserve_vcc 1
		.amdhsa_reserve_flat_scratch 0
		.amdhsa_float_round_mode_32 0
		.amdhsa_float_round_mode_16_64 0
		.amdhsa_float_denorm_mode_32 3
		.amdhsa_float_denorm_mode_16_64 3
		.amdhsa_dx10_clamp 1
		.amdhsa_ieee_mode 1
		.amdhsa_fp16_overflow 0
		.amdhsa_exception_fp_ieee_invalid_op 0
		.amdhsa_exception_fp_denorm_src 0
		.amdhsa_exception_fp_ieee_div_zero 0
		.amdhsa_exception_fp_ieee_overflow 0
		.amdhsa_exception_fp_ieee_underflow 0
		.amdhsa_exception_fp_ieee_inexact 0
		.amdhsa_exception_int_div_zero 0
	.end_amdhsa_kernel
	.section	.text._Z17testOperationsGPUI15HIP_vector_typeIdLj1EES1_EvPT_S3_i,"axG",@progbits,_Z17testOperationsGPUI15HIP_vector_typeIdLj1EES1_EvPT_S3_i,comdat
.Lfunc_end0:
	.size	_Z17testOperationsGPUI15HIP_vector_typeIdLj1EES1_EvPT_S3_i, .Lfunc_end0-_Z17testOperationsGPUI15HIP_vector_typeIdLj1EES1_EvPT_S3_i
                                        ; -- End function
	.set _Z17testOperationsGPUI15HIP_vector_typeIdLj1EES1_EvPT_S3_i.num_vgpr, 5
	.set _Z17testOperationsGPUI15HIP_vector_typeIdLj1EES1_EvPT_S3_i.num_agpr, 0
	.set _Z17testOperationsGPUI15HIP_vector_typeIdLj1EES1_EvPT_S3_i.numbered_sgpr, 6
	.set _Z17testOperationsGPUI15HIP_vector_typeIdLj1EES1_EvPT_S3_i.num_named_barrier, 0
	.set _Z17testOperationsGPUI15HIP_vector_typeIdLj1EES1_EvPT_S3_i.private_seg_size, 0
	.set _Z17testOperationsGPUI15HIP_vector_typeIdLj1EES1_EvPT_S3_i.uses_vcc, 1
	.set _Z17testOperationsGPUI15HIP_vector_typeIdLj1EES1_EvPT_S3_i.uses_flat_scratch, 0
	.set _Z17testOperationsGPUI15HIP_vector_typeIdLj1EES1_EvPT_S3_i.has_dyn_sized_stack, 0
	.set _Z17testOperationsGPUI15HIP_vector_typeIdLj1EES1_EvPT_S3_i.has_recursion, 0
	.set _Z17testOperationsGPUI15HIP_vector_typeIdLj1EES1_EvPT_S3_i.has_indirect_call, 0
	.section	.AMDGPU.csdata,"",@progbits
; Kernel info:
; codeLenInByte = 116
; TotalNumSgprs: 10
; NumVgprs: 5
; ScratchSize: 0
; MemoryBound: 0
; FloatMode: 240
; IeeeMode: 1
; LDSByteSize: 0 bytes/workgroup (compile time only)
; SGPRBlocks: 1
; VGPRBlocks: 1
; NumSGPRsForWavesPerEU: 10
; NumVGPRsForWavesPerEU: 5
; Occupancy: 10
; WaveLimiterHint : 0
; COMPUTE_PGM_RSRC2:SCRATCH_EN: 0
; COMPUTE_PGM_RSRC2:USER_SGPR: 6
; COMPUTE_PGM_RSRC2:TRAP_HANDLER: 0
; COMPUTE_PGM_RSRC2:TGID_X_EN: 1
; COMPUTE_PGM_RSRC2:TGID_Y_EN: 0
; COMPUTE_PGM_RSRC2:TGID_Z_EN: 0
; COMPUTE_PGM_RSRC2:TIDIG_COMP_CNT: 0
	.section	.text._Z17testOperationsGPUI15HIP_vector_typeIdLj2EES0_IdLj1EEEvPT_S4_i,"axG",@progbits,_Z17testOperationsGPUI15HIP_vector_typeIdLj2EES0_IdLj1EEEvPT_S4_i,comdat
	.protected	_Z17testOperationsGPUI15HIP_vector_typeIdLj2EES0_IdLj1EEEvPT_S4_i ; -- Begin function _Z17testOperationsGPUI15HIP_vector_typeIdLj2EES0_IdLj1EEEvPT_S4_i
	.globl	_Z17testOperationsGPUI15HIP_vector_typeIdLj2EES0_IdLj1EEEvPT_S4_i
	.p2align	8
	.type	_Z17testOperationsGPUI15HIP_vector_typeIdLj2EES0_IdLj1EEEvPT_S4_i,@function
_Z17testOperationsGPUI15HIP_vector_typeIdLj2EES0_IdLj1EEEvPT_S4_i: ; @_Z17testOperationsGPUI15HIP_vector_typeIdLj2EES0_IdLj1EEEvPT_S4_i
; %bb.0:
	s_load_dword s0, s[4:5], 0x10
	s_waitcnt lgkmcnt(0)
	v_cmp_ge_i32_e32 vcc, s0, v0
	s_and_saveexec_b64 s[0:1], vcc
	s_cbranch_execz .LBB1_2
; %bb.1:
	s_load_dwordx4 s[0:3], s[4:5], 0x0
	v_lshlrev_b32_e32 v4, 4, v0
	s_waitcnt lgkmcnt(0)
	global_load_dwordx2 v[0:1], v4, s[2:3]
	global_load_dwordx2 v[2:3], v4, s[0:1]
	s_waitcnt vmcnt(0)
	v_add_f64 v[0:1], v[0:1], v[2:3]
	v_add_f64 v[0:1], v[0:1], 1.0
	global_store_dwordx2 v4, v[0:1], s[0:1]
	global_load_dwordx2 v[0:1], v4, s[2:3]
	s_waitcnt vmcnt(0)
	v_add_f64 v[0:1], v[0:1], 1.0
	global_store_dwordx2 v4, v[0:1], s[0:1] offset:8
	global_load_dwordx2 v[2:3], v4, s[2:3] offset:8
	s_nop 0
	global_store_dwordx2 v4, v[0:1], s[2:3]
	s_waitcnt vmcnt(1)
	global_store_dwordx2 v4, v[2:3], s[0:1]
.LBB1_2:
	s_endpgm
	.section	.rodata,"a",@progbits
	.p2align	6, 0x0
	.amdhsa_kernel _Z17testOperationsGPUI15HIP_vector_typeIdLj2EES0_IdLj1EEEvPT_S4_i
		.amdhsa_group_segment_fixed_size 0
		.amdhsa_private_segment_fixed_size 0
		.amdhsa_kernarg_size 20
		.amdhsa_user_sgpr_count 6
		.amdhsa_user_sgpr_private_segment_buffer 1
		.amdhsa_user_sgpr_dispatch_ptr 0
		.amdhsa_user_sgpr_queue_ptr 0
		.amdhsa_user_sgpr_kernarg_segment_ptr 1
		.amdhsa_user_sgpr_dispatch_id 0
		.amdhsa_user_sgpr_flat_scratch_init 0
		.amdhsa_user_sgpr_private_segment_size 0
		.amdhsa_uses_dynamic_stack 0
		.amdhsa_system_sgpr_private_segment_wavefront_offset 0
		.amdhsa_system_sgpr_workgroup_id_x 1
		.amdhsa_system_sgpr_workgroup_id_y 0
		.amdhsa_system_sgpr_workgroup_id_z 0
		.amdhsa_system_sgpr_workgroup_info 0
		.amdhsa_system_vgpr_workitem_id 0
		.amdhsa_next_free_vgpr 5
		.amdhsa_next_free_sgpr 6
		.amdhsa_reserve_vcc 1
		.amdhsa_reserve_flat_scratch 0
		.amdhsa_float_round_mode_32 0
		.amdhsa_float_round_mode_16_64 0
		.amdhsa_float_denorm_mode_32 3
		.amdhsa_float_denorm_mode_16_64 3
		.amdhsa_dx10_clamp 1
		.amdhsa_ieee_mode 1
		.amdhsa_fp16_overflow 0
		.amdhsa_exception_fp_ieee_invalid_op 0
		.amdhsa_exception_fp_denorm_src 0
		.amdhsa_exception_fp_ieee_div_zero 0
		.amdhsa_exception_fp_ieee_overflow 0
		.amdhsa_exception_fp_ieee_underflow 0
		.amdhsa_exception_fp_ieee_inexact 0
		.amdhsa_exception_int_div_zero 0
	.end_amdhsa_kernel
	.section	.text._Z17testOperationsGPUI15HIP_vector_typeIdLj2EES0_IdLj1EEEvPT_S4_i,"axG",@progbits,_Z17testOperationsGPUI15HIP_vector_typeIdLj2EES0_IdLj1EEEvPT_S4_i,comdat
.Lfunc_end1:
	.size	_Z17testOperationsGPUI15HIP_vector_typeIdLj2EES0_IdLj1EEEvPT_S4_i, .Lfunc_end1-_Z17testOperationsGPUI15HIP_vector_typeIdLj2EES0_IdLj1EEEvPT_S4_i
                                        ; -- End function
	.set _Z17testOperationsGPUI15HIP_vector_typeIdLj2EES0_IdLj1EEEvPT_S4_i.num_vgpr, 5
	.set _Z17testOperationsGPUI15HIP_vector_typeIdLj2EES0_IdLj1EEEvPT_S4_i.num_agpr, 0
	.set _Z17testOperationsGPUI15HIP_vector_typeIdLj2EES0_IdLj1EEEvPT_S4_i.numbered_sgpr, 6
	.set _Z17testOperationsGPUI15HIP_vector_typeIdLj2EES0_IdLj1EEEvPT_S4_i.num_named_barrier, 0
	.set _Z17testOperationsGPUI15HIP_vector_typeIdLj2EES0_IdLj1EEEvPT_S4_i.private_seg_size, 0
	.set _Z17testOperationsGPUI15HIP_vector_typeIdLj2EES0_IdLj1EEEvPT_S4_i.uses_vcc, 1
	.set _Z17testOperationsGPUI15HIP_vector_typeIdLj2EES0_IdLj1EEEvPT_S4_i.uses_flat_scratch, 0
	.set _Z17testOperationsGPUI15HIP_vector_typeIdLj2EES0_IdLj1EEEvPT_S4_i.has_dyn_sized_stack, 0
	.set _Z17testOperationsGPUI15HIP_vector_typeIdLj2EES0_IdLj1EEEvPT_S4_i.has_recursion, 0
	.set _Z17testOperationsGPUI15HIP_vector_typeIdLj2EES0_IdLj1EEEvPT_S4_i.has_indirect_call, 0
	.section	.AMDGPU.csdata,"",@progbits
; Kernel info:
; codeLenInByte = 148
; TotalNumSgprs: 10
; NumVgprs: 5
; ScratchSize: 0
; MemoryBound: 1
; FloatMode: 240
; IeeeMode: 1
; LDSByteSize: 0 bytes/workgroup (compile time only)
; SGPRBlocks: 1
; VGPRBlocks: 1
; NumSGPRsForWavesPerEU: 10
; NumVGPRsForWavesPerEU: 5
; Occupancy: 10
; WaveLimiterHint : 1
; COMPUTE_PGM_RSRC2:SCRATCH_EN: 0
; COMPUTE_PGM_RSRC2:USER_SGPR: 6
; COMPUTE_PGM_RSRC2:TRAP_HANDLER: 0
; COMPUTE_PGM_RSRC2:TGID_X_EN: 1
; COMPUTE_PGM_RSRC2:TGID_Y_EN: 0
; COMPUTE_PGM_RSRC2:TGID_Z_EN: 0
; COMPUTE_PGM_RSRC2:TIDIG_COMP_CNT: 0
	.section	.text._Z17testOperationsGPUI15HIP_vector_typeIdLj3EES0_IdLj1EEEvPT_S4_i,"axG",@progbits,_Z17testOperationsGPUI15HIP_vector_typeIdLj3EES0_IdLj1EEEvPT_S4_i,comdat
	.protected	_Z17testOperationsGPUI15HIP_vector_typeIdLj3EES0_IdLj1EEEvPT_S4_i ; -- Begin function _Z17testOperationsGPUI15HIP_vector_typeIdLj3EES0_IdLj1EEEvPT_S4_i
	.globl	_Z17testOperationsGPUI15HIP_vector_typeIdLj3EES0_IdLj1EEEvPT_S4_i
	.p2align	8
	.type	_Z17testOperationsGPUI15HIP_vector_typeIdLj3EES0_IdLj1EEEvPT_S4_i,@function
_Z17testOperationsGPUI15HIP_vector_typeIdLj3EES0_IdLj1EEEvPT_S4_i: ; @_Z17testOperationsGPUI15HIP_vector_typeIdLj3EES0_IdLj1EEEvPT_S4_i
; %bb.0:
	s_load_dword s0, s[4:5], 0x10
	s_waitcnt lgkmcnt(0)
	v_cmp_ge_i32_e32 vcc, s0, v0
	s_and_saveexec_b64 s[0:1], vcc
	s_cbranch_execz .LBB2_4
; %bb.1:
	s_load_dwordx4 s[0:3], s[4:5], 0x0
	s_waitcnt lgkmcnt(0)
	v_mov_b32_e32 v1, s2
	v_mov_b32_e32 v2, s3
	;; [unrolled: 1-line block ×4, first 2 shown]
	v_mad_u64_u32 v[2:3], s[0:1], v0, 24, v[1:2]
	v_mad_u64_u32 v[0:1], s[0:1], v0, 24, v[4:5]
	global_load_dwordx2 v[4:5], v[2:3], off
	global_load_dwordx2 v[6:7], v[0:1], off
	s_waitcnt vmcnt(0)
	v_add_f64 v[4:5], v[4:5], v[6:7]
	v_add_f64 v[4:5], v[4:5], 1.0
	global_store_dwordx2 v[0:1], v[4:5], off
	global_load_dwordx2 v[4:5], v[2:3], off
	s_waitcnt vmcnt(0)
	v_add_f64 v[4:5], v[4:5], 1.0
	global_store_dwordx2 v[0:1], v[4:5], off offset:8
	global_load_dwordx2 v[6:7], v[2:3], off offset:8
	s_nop 0
	global_store_dwordx2 v[2:3], v[4:5], off
	s_waitcnt vmcnt(1)
	global_store_dwordx2 v[0:1], v[6:7], off
	v_cmp_lt_f64_e32 vcc, 0, v[6:7]
	s_and_saveexec_b64 s[0:1], vcc
	s_cbranch_execz .LBB2_3
; %bb.2:
	global_load_dwordx2 v[8:9], v[2:3], off
	s_waitcnt vmcnt(0)
	v_div_scale_f64 v[10:11], s[2:3], v[6:7], v[6:7], v[8:9]
	v_div_scale_f64 v[16:17], vcc, v[8:9], v[6:7], v[8:9]
	v_rcp_f64_e32 v[12:13], v[10:11]
	v_fma_f64 v[14:15], -v[10:11], v[12:13], 1.0
	v_fma_f64 v[12:13], v[12:13], v[14:15], v[12:13]
	v_fma_f64 v[14:15], -v[10:11], v[12:13], 1.0
	v_fma_f64 v[12:13], v[12:13], v[14:15], v[12:13]
	v_mul_f64 v[14:15], v[16:17], v[12:13]
	v_fma_f64 v[10:11], -v[10:11], v[14:15], v[16:17]
	v_div_fmas_f64 v[10:11], v[10:11], v[12:13], v[14:15]
	v_div_fixup_f64 v[6:7], v[10:11], v[6:7], v[8:9]
	global_store_dwordx2 v[2:3], v[6:7], off
	global_load_dwordx2 v[6:7], v[0:1], off
.LBB2_3:
	s_or_b64 exec, exec, s[0:1]
	global_load_dwordx2 v[2:3], v[2:3], off offset:16
	v_add_f64 v[4:5], v[4:5], -1.0
	s_waitcnt vmcnt(0)
	v_mul_f64 v[2:3], v[6:7], v[2:3]
	global_store_dwordx4 v[0:1], v[2:5], off
.LBB2_4:
	s_endpgm
	.section	.rodata,"a",@progbits
	.p2align	6, 0x0
	.amdhsa_kernel _Z17testOperationsGPUI15HIP_vector_typeIdLj3EES0_IdLj1EEEvPT_S4_i
		.amdhsa_group_segment_fixed_size 0
		.amdhsa_private_segment_fixed_size 0
		.amdhsa_kernarg_size 20
		.amdhsa_user_sgpr_count 6
		.amdhsa_user_sgpr_private_segment_buffer 1
		.amdhsa_user_sgpr_dispatch_ptr 0
		.amdhsa_user_sgpr_queue_ptr 0
		.amdhsa_user_sgpr_kernarg_segment_ptr 1
		.amdhsa_user_sgpr_dispatch_id 0
		.amdhsa_user_sgpr_flat_scratch_init 0
		.amdhsa_user_sgpr_private_segment_size 0
		.amdhsa_uses_dynamic_stack 0
		.amdhsa_system_sgpr_private_segment_wavefront_offset 0
		.amdhsa_system_sgpr_workgroup_id_x 1
		.amdhsa_system_sgpr_workgroup_id_y 0
		.amdhsa_system_sgpr_workgroup_id_z 0
		.amdhsa_system_sgpr_workgroup_info 0
		.amdhsa_system_vgpr_workitem_id 0
		.amdhsa_next_free_vgpr 18
		.amdhsa_next_free_sgpr 6
		.amdhsa_reserve_vcc 1
		.amdhsa_reserve_flat_scratch 0
		.amdhsa_float_round_mode_32 0
		.amdhsa_float_round_mode_16_64 0
		.amdhsa_float_denorm_mode_32 3
		.amdhsa_float_denorm_mode_16_64 3
		.amdhsa_dx10_clamp 1
		.amdhsa_ieee_mode 1
		.amdhsa_fp16_overflow 0
		.amdhsa_exception_fp_ieee_invalid_op 0
		.amdhsa_exception_fp_denorm_src 0
		.amdhsa_exception_fp_ieee_div_zero 0
		.amdhsa_exception_fp_ieee_overflow 0
		.amdhsa_exception_fp_ieee_underflow 0
		.amdhsa_exception_fp_ieee_inexact 0
		.amdhsa_exception_int_div_zero 0
	.end_amdhsa_kernel
	.section	.text._Z17testOperationsGPUI15HIP_vector_typeIdLj3EES0_IdLj1EEEvPT_S4_i,"axG",@progbits,_Z17testOperationsGPUI15HIP_vector_typeIdLj3EES0_IdLj1EEEvPT_S4_i,comdat
.Lfunc_end2:
	.size	_Z17testOperationsGPUI15HIP_vector_typeIdLj3EES0_IdLj1EEEvPT_S4_i, .Lfunc_end2-_Z17testOperationsGPUI15HIP_vector_typeIdLj3EES0_IdLj1EEEvPT_S4_i
                                        ; -- End function
	.set _Z17testOperationsGPUI15HIP_vector_typeIdLj3EES0_IdLj1EEEvPT_S4_i.num_vgpr, 18
	.set _Z17testOperationsGPUI15HIP_vector_typeIdLj3EES0_IdLj1EEEvPT_S4_i.num_agpr, 0
	.set _Z17testOperationsGPUI15HIP_vector_typeIdLj3EES0_IdLj1EEEvPT_S4_i.numbered_sgpr, 6
	.set _Z17testOperationsGPUI15HIP_vector_typeIdLj3EES0_IdLj1EEEvPT_S4_i.num_named_barrier, 0
	.set _Z17testOperationsGPUI15HIP_vector_typeIdLj3EES0_IdLj1EEEvPT_S4_i.private_seg_size, 0
	.set _Z17testOperationsGPUI15HIP_vector_typeIdLj3EES0_IdLj1EEEvPT_S4_i.uses_vcc, 1
	.set _Z17testOperationsGPUI15HIP_vector_typeIdLj3EES0_IdLj1EEEvPT_S4_i.uses_flat_scratch, 0
	.set _Z17testOperationsGPUI15HIP_vector_typeIdLj3EES0_IdLj1EEEvPT_S4_i.has_dyn_sized_stack, 0
	.set _Z17testOperationsGPUI15HIP_vector_typeIdLj3EES0_IdLj1EEEvPT_S4_i.has_recursion, 0
	.set _Z17testOperationsGPUI15HIP_vector_typeIdLj3EES0_IdLj1EEEvPT_S4_i.has_indirect_call, 0
	.section	.AMDGPU.csdata,"",@progbits
; Kernel info:
; codeLenInByte = 340
; TotalNumSgprs: 10
; NumVgprs: 18
; ScratchSize: 0
; MemoryBound: 0
; FloatMode: 240
; IeeeMode: 1
; LDSByteSize: 0 bytes/workgroup (compile time only)
; SGPRBlocks: 1
; VGPRBlocks: 4
; NumSGPRsForWavesPerEU: 10
; NumVGPRsForWavesPerEU: 18
; Occupancy: 10
; WaveLimiterHint : 0
; COMPUTE_PGM_RSRC2:SCRATCH_EN: 0
; COMPUTE_PGM_RSRC2:USER_SGPR: 6
; COMPUTE_PGM_RSRC2:TRAP_HANDLER: 0
; COMPUTE_PGM_RSRC2:TGID_X_EN: 1
; COMPUTE_PGM_RSRC2:TGID_Y_EN: 0
; COMPUTE_PGM_RSRC2:TGID_Z_EN: 0
; COMPUTE_PGM_RSRC2:TIDIG_COMP_CNT: 0
	.section	.text._Z17testOperationsGPUI15HIP_vector_typeIdLj4EES0_IdLj1EEEvPT_S4_i,"axG",@progbits,_Z17testOperationsGPUI15HIP_vector_typeIdLj4EES0_IdLj1EEEvPT_S4_i,comdat
	.protected	_Z17testOperationsGPUI15HIP_vector_typeIdLj4EES0_IdLj1EEEvPT_S4_i ; -- Begin function _Z17testOperationsGPUI15HIP_vector_typeIdLj4EES0_IdLj1EEEvPT_S4_i
	.globl	_Z17testOperationsGPUI15HIP_vector_typeIdLj4EES0_IdLj1EEEvPT_S4_i
	.p2align	8
	.type	_Z17testOperationsGPUI15HIP_vector_typeIdLj4EES0_IdLj1EEEvPT_S4_i,@function
_Z17testOperationsGPUI15HIP_vector_typeIdLj4EES0_IdLj1EEEvPT_S4_i: ; @_Z17testOperationsGPUI15HIP_vector_typeIdLj4EES0_IdLj1EEEvPT_S4_i
; %bb.0:
	s_load_dword s0, s[4:5], 0x10
	s_waitcnt lgkmcnt(0)
	v_cmp_ge_i32_e32 vcc, s0, v0
	s_and_saveexec_b64 s[0:1], vcc
	s_cbranch_execz .LBB3_4
; %bb.1:
	s_load_dwordx4 s[4:7], s[4:5], 0x0
	v_lshlrev_b32_e32 v8, 5, v0
	s_waitcnt lgkmcnt(0)
	global_load_dwordx2 v[0:1], v8, s[6:7]
	global_load_dwordx2 v[2:3], v8, s[4:5]
	s_waitcnt vmcnt(0)
	v_add_f64 v[0:1], v[0:1], v[2:3]
	v_mov_b32_e32 v3, s7
	v_add_co_u32_e64 v2, s[0:1], s6, v8
	v_addc_co_u32_e64 v3, s[0:1], 0, v3, s[0:1]
	v_add_f64 v[0:1], v[0:1], 1.0
	global_store_dwordx2 v8, v[0:1], s[4:5]
	global_load_dwordx2 v[0:1], v8, s[6:7]
	s_waitcnt vmcnt(0)
	v_add_f64 v[4:5], v[0:1], 1.0
	v_mov_b32_e32 v1, s5
	v_add_co_u32_e32 v0, vcc, s4, v8
	v_addc_co_u32_e32 v1, vcc, 0, v1, vcc
	global_store_dwordx2 v8, v[4:5], s[4:5] offset:8
	global_load_dwordx2 v[6:7], v8, s[6:7] offset:8
	s_nop 0
	global_store_dwordx2 v8, v[4:5], s[6:7]
	s_waitcnt vmcnt(1)
	global_store_dwordx2 v8, v[6:7], s[4:5]
	v_cmp_lt_f64_e32 vcc, 0, v[6:7]
	s_and_saveexec_b64 s[0:1], vcc
	s_cbranch_execz .LBB3_3
; %bb.2:
	global_load_dwordx2 v[8:9], v[2:3], off
	s_waitcnt vmcnt(0)
	v_div_scale_f64 v[10:11], s[2:3], v[6:7], v[6:7], v[8:9]
	v_div_scale_f64 v[16:17], vcc, v[8:9], v[6:7], v[8:9]
	v_rcp_f64_e32 v[12:13], v[10:11]
	v_fma_f64 v[14:15], -v[10:11], v[12:13], 1.0
	v_fma_f64 v[12:13], v[12:13], v[14:15], v[12:13]
	v_fma_f64 v[14:15], -v[10:11], v[12:13], 1.0
	v_fma_f64 v[12:13], v[12:13], v[14:15], v[12:13]
	v_mul_f64 v[14:15], v[16:17], v[12:13]
	v_fma_f64 v[10:11], -v[10:11], v[14:15], v[16:17]
	v_div_fmas_f64 v[10:11], v[10:11], v[12:13], v[14:15]
	v_div_fixup_f64 v[6:7], v[10:11], v[6:7], v[8:9]
	global_store_dwordx2 v[2:3], v[6:7], off
	global_load_dwordx2 v[6:7], v[0:1], off
.LBB3_3:
	s_or_b64 exec, exec, s[0:1]
	global_load_dwordx2 v[10:11], v[2:3], off offset:16
	v_add_f64 v[8:9], v[4:5], -1.0
	s_waitcnt vmcnt(0)
	v_mul_f64 v[6:7], v[6:7], v[10:11]
	global_store_dwordx4 v[0:1], v[6:9], off
	global_store_dwordx2 v[2:3], v[6:7], off offset:24
	global_load_dwordx2 v[4:5], v[2:3], off offset:8
	s_nop 0
	global_load_dwordx2 v[6:7], v[0:1], off offset:24
	s_waitcnt vmcnt(0)
	v_add_f64 v[2:3], v[6:7], -v[4:5]
	global_store_dwordx2 v[0:1], v[2:3], off offset:24
.LBB3_4:
	s_endpgm
	.section	.rodata,"a",@progbits
	.p2align	6, 0x0
	.amdhsa_kernel _Z17testOperationsGPUI15HIP_vector_typeIdLj4EES0_IdLj1EEEvPT_S4_i
		.amdhsa_group_segment_fixed_size 0
		.amdhsa_private_segment_fixed_size 0
		.amdhsa_kernarg_size 20
		.amdhsa_user_sgpr_count 6
		.amdhsa_user_sgpr_private_segment_buffer 1
		.amdhsa_user_sgpr_dispatch_ptr 0
		.amdhsa_user_sgpr_queue_ptr 0
		.amdhsa_user_sgpr_kernarg_segment_ptr 1
		.amdhsa_user_sgpr_dispatch_id 0
		.amdhsa_user_sgpr_flat_scratch_init 0
		.amdhsa_user_sgpr_private_segment_size 0
		.amdhsa_uses_dynamic_stack 0
		.amdhsa_system_sgpr_private_segment_wavefront_offset 0
		.amdhsa_system_sgpr_workgroup_id_x 1
		.amdhsa_system_sgpr_workgroup_id_y 0
		.amdhsa_system_sgpr_workgroup_id_z 0
		.amdhsa_system_sgpr_workgroup_info 0
		.amdhsa_system_vgpr_workitem_id 0
		.amdhsa_next_free_vgpr 18
		.amdhsa_next_free_sgpr 8
		.amdhsa_reserve_vcc 1
		.amdhsa_reserve_flat_scratch 0
		.amdhsa_float_round_mode_32 0
		.amdhsa_float_round_mode_16_64 0
		.amdhsa_float_denorm_mode_32 3
		.amdhsa_float_denorm_mode_16_64 3
		.amdhsa_dx10_clamp 1
		.amdhsa_ieee_mode 1
		.amdhsa_fp16_overflow 0
		.amdhsa_exception_fp_ieee_invalid_op 0
		.amdhsa_exception_fp_denorm_src 0
		.amdhsa_exception_fp_ieee_div_zero 0
		.amdhsa_exception_fp_ieee_overflow 0
		.amdhsa_exception_fp_ieee_underflow 0
		.amdhsa_exception_fp_ieee_inexact 0
		.amdhsa_exception_int_div_zero 0
	.end_amdhsa_kernel
	.section	.text._Z17testOperationsGPUI15HIP_vector_typeIdLj4EES0_IdLj1EEEvPT_S4_i,"axG",@progbits,_Z17testOperationsGPUI15HIP_vector_typeIdLj4EES0_IdLj1EEEvPT_S4_i,comdat
.Lfunc_end3:
	.size	_Z17testOperationsGPUI15HIP_vector_typeIdLj4EES0_IdLj1EEEvPT_S4_i, .Lfunc_end3-_Z17testOperationsGPUI15HIP_vector_typeIdLj4EES0_IdLj1EEEvPT_S4_i
                                        ; -- End function
	.set _Z17testOperationsGPUI15HIP_vector_typeIdLj4EES0_IdLj1EEEvPT_S4_i.num_vgpr, 18
	.set _Z17testOperationsGPUI15HIP_vector_typeIdLj4EES0_IdLj1EEEvPT_S4_i.num_agpr, 0
	.set _Z17testOperationsGPUI15HIP_vector_typeIdLj4EES0_IdLj1EEEvPT_S4_i.numbered_sgpr, 8
	.set _Z17testOperationsGPUI15HIP_vector_typeIdLj4EES0_IdLj1EEEvPT_S4_i.num_named_barrier, 0
	.set _Z17testOperationsGPUI15HIP_vector_typeIdLj4EES0_IdLj1EEEvPT_S4_i.private_seg_size, 0
	.set _Z17testOperationsGPUI15HIP_vector_typeIdLj4EES0_IdLj1EEEvPT_S4_i.uses_vcc, 1
	.set _Z17testOperationsGPUI15HIP_vector_typeIdLj4EES0_IdLj1EEEvPT_S4_i.uses_flat_scratch, 0
	.set _Z17testOperationsGPUI15HIP_vector_typeIdLj4EES0_IdLj1EEEvPT_S4_i.has_dyn_sized_stack, 0
	.set _Z17testOperationsGPUI15HIP_vector_typeIdLj4EES0_IdLj1EEEvPT_S4_i.has_recursion, 0
	.set _Z17testOperationsGPUI15HIP_vector_typeIdLj4EES0_IdLj1EEEvPT_S4_i.has_indirect_call, 0
	.section	.AMDGPU.csdata,"",@progbits
; Kernel info:
; codeLenInByte = 392
; TotalNumSgprs: 12
; NumVgprs: 18
; ScratchSize: 0
; MemoryBound: 1
; FloatMode: 240
; IeeeMode: 1
; LDSByteSize: 0 bytes/workgroup (compile time only)
; SGPRBlocks: 1
; VGPRBlocks: 4
; NumSGPRsForWavesPerEU: 12
; NumVGPRsForWavesPerEU: 18
; Occupancy: 10
; WaveLimiterHint : 1
; COMPUTE_PGM_RSRC2:SCRATCH_EN: 0
; COMPUTE_PGM_RSRC2:USER_SGPR: 6
; COMPUTE_PGM_RSRC2:TRAP_HANDLER: 0
; COMPUTE_PGM_RSRC2:TGID_X_EN: 1
; COMPUTE_PGM_RSRC2:TGID_Y_EN: 0
; COMPUTE_PGM_RSRC2:TGID_Z_EN: 0
; COMPUTE_PGM_RSRC2:TIDIG_COMP_CNT: 0
	.section	.text._Z17testOperationsGPUI15HIP_vector_typeIfLj1EES1_EvPT_S3_i,"axG",@progbits,_Z17testOperationsGPUI15HIP_vector_typeIfLj1EES1_EvPT_S3_i,comdat
	.protected	_Z17testOperationsGPUI15HIP_vector_typeIfLj1EES1_EvPT_S3_i ; -- Begin function _Z17testOperationsGPUI15HIP_vector_typeIfLj1EES1_EvPT_S3_i
	.globl	_Z17testOperationsGPUI15HIP_vector_typeIfLj1EES1_EvPT_S3_i
	.p2align	8
	.type	_Z17testOperationsGPUI15HIP_vector_typeIfLj1EES1_EvPT_S3_i,@function
_Z17testOperationsGPUI15HIP_vector_typeIfLj1EES1_EvPT_S3_i: ; @_Z17testOperationsGPUI15HIP_vector_typeIfLj1EES1_EvPT_S3_i
; %bb.0:
	s_load_dword s0, s[4:5], 0x10
	s_waitcnt lgkmcnt(0)
	v_cmp_ge_i32_e32 vcc, s0, v0
	s_and_saveexec_b64 s[0:1], vcc
	s_cbranch_execz .LBB4_2
; %bb.1:
	s_load_dwordx4 s[0:3], s[4:5], 0x0
	v_lshlrev_b32_e32 v0, 2, v0
	s_waitcnt lgkmcnt(0)
	global_load_dword v1, v0, s[2:3]
	global_load_dword v2, v0, s[0:1]
	s_waitcnt vmcnt(0)
	v_add_f32_e32 v1, v1, v2
	v_add_f32_e32 v1, 1.0, v1
	global_store_dword v0, v1, s[0:1]
	global_load_dword v1, v0, s[2:3]
	s_waitcnt vmcnt(0)
	v_add_f32_e32 v1, 1.0, v1
	global_store_dword v0, v1, s[2:3]
.LBB4_2:
	s_endpgm
	.section	.rodata,"a",@progbits
	.p2align	6, 0x0
	.amdhsa_kernel _Z17testOperationsGPUI15HIP_vector_typeIfLj1EES1_EvPT_S3_i
		.amdhsa_group_segment_fixed_size 0
		.amdhsa_private_segment_fixed_size 0
		.amdhsa_kernarg_size 20
		.amdhsa_user_sgpr_count 6
		.amdhsa_user_sgpr_private_segment_buffer 1
		.amdhsa_user_sgpr_dispatch_ptr 0
		.amdhsa_user_sgpr_queue_ptr 0
		.amdhsa_user_sgpr_kernarg_segment_ptr 1
		.amdhsa_user_sgpr_dispatch_id 0
		.amdhsa_user_sgpr_flat_scratch_init 0
		.amdhsa_user_sgpr_private_segment_size 0
		.amdhsa_uses_dynamic_stack 0
		.amdhsa_system_sgpr_private_segment_wavefront_offset 0
		.amdhsa_system_sgpr_workgroup_id_x 1
		.amdhsa_system_sgpr_workgroup_id_y 0
		.amdhsa_system_sgpr_workgroup_id_z 0
		.amdhsa_system_sgpr_workgroup_info 0
		.amdhsa_system_vgpr_workitem_id 0
		.amdhsa_next_free_vgpr 3
		.amdhsa_next_free_sgpr 6
		.amdhsa_reserve_vcc 1
		.amdhsa_reserve_flat_scratch 0
		.amdhsa_float_round_mode_32 0
		.amdhsa_float_round_mode_16_64 0
		.amdhsa_float_denorm_mode_32 3
		.amdhsa_float_denorm_mode_16_64 3
		.amdhsa_dx10_clamp 1
		.amdhsa_ieee_mode 1
		.amdhsa_fp16_overflow 0
		.amdhsa_exception_fp_ieee_invalid_op 0
		.amdhsa_exception_fp_denorm_src 0
		.amdhsa_exception_fp_ieee_div_zero 0
		.amdhsa_exception_fp_ieee_overflow 0
		.amdhsa_exception_fp_ieee_underflow 0
		.amdhsa_exception_fp_ieee_inexact 0
		.amdhsa_exception_int_div_zero 0
	.end_amdhsa_kernel
	.section	.text._Z17testOperationsGPUI15HIP_vector_typeIfLj1EES1_EvPT_S3_i,"axG",@progbits,_Z17testOperationsGPUI15HIP_vector_typeIfLj1EES1_EvPT_S3_i,comdat
.Lfunc_end4:
	.size	_Z17testOperationsGPUI15HIP_vector_typeIfLj1EES1_EvPT_S3_i, .Lfunc_end4-_Z17testOperationsGPUI15HIP_vector_typeIfLj1EES1_EvPT_S3_i
                                        ; -- End function
	.set _Z17testOperationsGPUI15HIP_vector_typeIfLj1EES1_EvPT_S3_i.num_vgpr, 3
	.set _Z17testOperationsGPUI15HIP_vector_typeIfLj1EES1_EvPT_S3_i.num_agpr, 0
	.set _Z17testOperationsGPUI15HIP_vector_typeIfLj1EES1_EvPT_S3_i.numbered_sgpr, 6
	.set _Z17testOperationsGPUI15HIP_vector_typeIfLj1EES1_EvPT_S3_i.num_named_barrier, 0
	.set _Z17testOperationsGPUI15HIP_vector_typeIfLj1EES1_EvPT_S3_i.private_seg_size, 0
	.set _Z17testOperationsGPUI15HIP_vector_typeIfLj1EES1_EvPT_S3_i.uses_vcc, 1
	.set _Z17testOperationsGPUI15HIP_vector_typeIfLj1EES1_EvPT_S3_i.uses_flat_scratch, 0
	.set _Z17testOperationsGPUI15HIP_vector_typeIfLj1EES1_EvPT_S3_i.has_dyn_sized_stack, 0
	.set _Z17testOperationsGPUI15HIP_vector_typeIfLj1EES1_EvPT_S3_i.has_recursion, 0
	.set _Z17testOperationsGPUI15HIP_vector_typeIfLj1EES1_EvPT_S3_i.has_indirect_call, 0
	.section	.AMDGPU.csdata,"",@progbits
; Kernel info:
; codeLenInByte = 104
; TotalNumSgprs: 10
; NumVgprs: 3
; ScratchSize: 0
; MemoryBound: 0
; FloatMode: 240
; IeeeMode: 1
; LDSByteSize: 0 bytes/workgroup (compile time only)
; SGPRBlocks: 1
; VGPRBlocks: 0
; NumSGPRsForWavesPerEU: 10
; NumVGPRsForWavesPerEU: 3
; Occupancy: 10
; WaveLimiterHint : 0
; COMPUTE_PGM_RSRC2:SCRATCH_EN: 0
; COMPUTE_PGM_RSRC2:USER_SGPR: 6
; COMPUTE_PGM_RSRC2:TRAP_HANDLER: 0
; COMPUTE_PGM_RSRC2:TGID_X_EN: 1
; COMPUTE_PGM_RSRC2:TGID_Y_EN: 0
; COMPUTE_PGM_RSRC2:TGID_Z_EN: 0
; COMPUTE_PGM_RSRC2:TIDIG_COMP_CNT: 0
	.section	.text._Z17testOperationsGPUI15HIP_vector_typeIfLj2EES0_IfLj1EEEvPT_S4_i,"axG",@progbits,_Z17testOperationsGPUI15HIP_vector_typeIfLj2EES0_IfLj1EEEvPT_S4_i,comdat
	.protected	_Z17testOperationsGPUI15HIP_vector_typeIfLj2EES0_IfLj1EEEvPT_S4_i ; -- Begin function _Z17testOperationsGPUI15HIP_vector_typeIfLj2EES0_IfLj1EEEvPT_S4_i
	.globl	_Z17testOperationsGPUI15HIP_vector_typeIfLj2EES0_IfLj1EEEvPT_S4_i
	.p2align	8
	.type	_Z17testOperationsGPUI15HIP_vector_typeIfLj2EES0_IfLj1EEEvPT_S4_i,@function
_Z17testOperationsGPUI15HIP_vector_typeIfLj2EES0_IfLj1EEEvPT_S4_i: ; @_Z17testOperationsGPUI15HIP_vector_typeIfLj2EES0_IfLj1EEEvPT_S4_i
; %bb.0:
	s_load_dword s0, s[4:5], 0x10
	s_waitcnt lgkmcnt(0)
	v_cmp_ge_i32_e32 vcc, s0, v0
	s_and_saveexec_b64 s[0:1], vcc
	s_cbranch_execz .LBB5_2
; %bb.1:
	s_load_dwordx4 s[0:3], s[4:5], 0x0
	v_lshlrev_b32_e32 v0, 3, v0
	s_waitcnt lgkmcnt(0)
	global_load_dword v1, v0, s[2:3]
	global_load_dword v2, v0, s[0:1]
	s_waitcnt vmcnt(0)
	v_add_f32_e32 v1, v1, v2
	v_add_f32_e32 v1, 1.0, v1
	global_store_dword v0, v1, s[0:1]
	global_load_dword v1, v0, s[2:3]
	s_waitcnt vmcnt(0)
	v_add_f32_e32 v1, 1.0, v1
	global_store_dword v0, v1, s[0:1] offset:4
	global_load_dword v2, v0, s[2:3] offset:4
	s_nop 0
	global_store_dword v0, v1, s[2:3]
	s_waitcnt vmcnt(1)
	global_store_dword v0, v2, s[0:1]
.LBB5_2:
	s_endpgm
	.section	.rodata,"a",@progbits
	.p2align	6, 0x0
	.amdhsa_kernel _Z17testOperationsGPUI15HIP_vector_typeIfLj2EES0_IfLj1EEEvPT_S4_i
		.amdhsa_group_segment_fixed_size 0
		.amdhsa_private_segment_fixed_size 0
		.amdhsa_kernarg_size 20
		.amdhsa_user_sgpr_count 6
		.amdhsa_user_sgpr_private_segment_buffer 1
		.amdhsa_user_sgpr_dispatch_ptr 0
		.amdhsa_user_sgpr_queue_ptr 0
		.amdhsa_user_sgpr_kernarg_segment_ptr 1
		.amdhsa_user_sgpr_dispatch_id 0
		.amdhsa_user_sgpr_flat_scratch_init 0
		.amdhsa_user_sgpr_private_segment_size 0
		.amdhsa_uses_dynamic_stack 0
		.amdhsa_system_sgpr_private_segment_wavefront_offset 0
		.amdhsa_system_sgpr_workgroup_id_x 1
		.amdhsa_system_sgpr_workgroup_id_y 0
		.amdhsa_system_sgpr_workgroup_id_z 0
		.amdhsa_system_sgpr_workgroup_info 0
		.amdhsa_system_vgpr_workitem_id 0
		.amdhsa_next_free_vgpr 3
		.amdhsa_next_free_sgpr 6
		.amdhsa_reserve_vcc 1
		.amdhsa_reserve_flat_scratch 0
		.amdhsa_float_round_mode_32 0
		.amdhsa_float_round_mode_16_64 0
		.amdhsa_float_denorm_mode_32 3
		.amdhsa_float_denorm_mode_16_64 3
		.amdhsa_dx10_clamp 1
		.amdhsa_ieee_mode 1
		.amdhsa_fp16_overflow 0
		.amdhsa_exception_fp_ieee_invalid_op 0
		.amdhsa_exception_fp_denorm_src 0
		.amdhsa_exception_fp_ieee_div_zero 0
		.amdhsa_exception_fp_ieee_overflow 0
		.amdhsa_exception_fp_ieee_underflow 0
		.amdhsa_exception_fp_ieee_inexact 0
		.amdhsa_exception_int_div_zero 0
	.end_amdhsa_kernel
	.section	.text._Z17testOperationsGPUI15HIP_vector_typeIfLj2EES0_IfLj1EEEvPT_S4_i,"axG",@progbits,_Z17testOperationsGPUI15HIP_vector_typeIfLj2EES0_IfLj1EEEvPT_S4_i,comdat
.Lfunc_end5:
	.size	_Z17testOperationsGPUI15HIP_vector_typeIfLj2EES0_IfLj1EEEvPT_S4_i, .Lfunc_end5-_Z17testOperationsGPUI15HIP_vector_typeIfLj2EES0_IfLj1EEEvPT_S4_i
                                        ; -- End function
	.set _Z17testOperationsGPUI15HIP_vector_typeIfLj2EES0_IfLj1EEEvPT_S4_i.num_vgpr, 3
	.set _Z17testOperationsGPUI15HIP_vector_typeIfLj2EES0_IfLj1EEEvPT_S4_i.num_agpr, 0
	.set _Z17testOperationsGPUI15HIP_vector_typeIfLj2EES0_IfLj1EEEvPT_S4_i.numbered_sgpr, 6
	.set _Z17testOperationsGPUI15HIP_vector_typeIfLj2EES0_IfLj1EEEvPT_S4_i.num_named_barrier, 0
	.set _Z17testOperationsGPUI15HIP_vector_typeIfLj2EES0_IfLj1EEEvPT_S4_i.private_seg_size, 0
	.set _Z17testOperationsGPUI15HIP_vector_typeIfLj2EES0_IfLj1EEEvPT_S4_i.uses_vcc, 1
	.set _Z17testOperationsGPUI15HIP_vector_typeIfLj2EES0_IfLj1EEEvPT_S4_i.uses_flat_scratch, 0
	.set _Z17testOperationsGPUI15HIP_vector_typeIfLj2EES0_IfLj1EEEvPT_S4_i.has_dyn_sized_stack, 0
	.set _Z17testOperationsGPUI15HIP_vector_typeIfLj2EES0_IfLj1EEEvPT_S4_i.has_recursion, 0
	.set _Z17testOperationsGPUI15HIP_vector_typeIfLj2EES0_IfLj1EEEvPT_S4_i.has_indirect_call, 0
	.section	.AMDGPU.csdata,"",@progbits
; Kernel info:
; codeLenInByte = 136
; TotalNumSgprs: 10
; NumVgprs: 3
; ScratchSize: 0
; MemoryBound: 0
; FloatMode: 240
; IeeeMode: 1
; LDSByteSize: 0 bytes/workgroup (compile time only)
; SGPRBlocks: 1
; VGPRBlocks: 0
; NumSGPRsForWavesPerEU: 10
; NumVGPRsForWavesPerEU: 3
; Occupancy: 10
; WaveLimiterHint : 0
; COMPUTE_PGM_RSRC2:SCRATCH_EN: 0
; COMPUTE_PGM_RSRC2:USER_SGPR: 6
; COMPUTE_PGM_RSRC2:TRAP_HANDLER: 0
; COMPUTE_PGM_RSRC2:TGID_X_EN: 1
; COMPUTE_PGM_RSRC2:TGID_Y_EN: 0
; COMPUTE_PGM_RSRC2:TGID_Z_EN: 0
; COMPUTE_PGM_RSRC2:TIDIG_COMP_CNT: 0
	.section	.text._Z17testOperationsGPUI15HIP_vector_typeIfLj3EES0_IfLj1EEEvPT_S4_i,"axG",@progbits,_Z17testOperationsGPUI15HIP_vector_typeIfLj3EES0_IfLj1EEEvPT_S4_i,comdat
	.protected	_Z17testOperationsGPUI15HIP_vector_typeIfLj3EES0_IfLj1EEEvPT_S4_i ; -- Begin function _Z17testOperationsGPUI15HIP_vector_typeIfLj3EES0_IfLj1EEEvPT_S4_i
	.globl	_Z17testOperationsGPUI15HIP_vector_typeIfLj3EES0_IfLj1EEEvPT_S4_i
	.p2align	8
	.type	_Z17testOperationsGPUI15HIP_vector_typeIfLj3EES0_IfLj1EEEvPT_S4_i,@function
_Z17testOperationsGPUI15HIP_vector_typeIfLj3EES0_IfLj1EEEvPT_S4_i: ; @_Z17testOperationsGPUI15HIP_vector_typeIfLj3EES0_IfLj1EEEvPT_S4_i
; %bb.0:
	s_load_dword s0, s[4:5], 0x10
	s_waitcnt lgkmcnt(0)
	v_cmp_ge_i32_e32 vcc, s0, v0
	s_and_saveexec_b64 s[0:1], vcc
	s_cbranch_execz .LBB6_4
; %bb.1:
	s_load_dwordx4 s[0:3], s[4:5], 0x0
	s_waitcnt lgkmcnt(0)
	v_mov_b32_e32 v1, s2
	v_mov_b32_e32 v2, s3
	v_mov_b32_e32 v4, s0
	v_mov_b32_e32 v5, s1
	v_mad_u64_u32 v[2:3], s[0:1], v0, 12, v[1:2]
	v_mad_u64_u32 v[0:1], s[0:1], v0, 12, v[4:5]
	global_load_dword v4, v[2:3], off
	global_load_dword v5, v[0:1], off
	s_waitcnt vmcnt(0)
	v_add_f32_e32 v4, v4, v5
	v_add_f32_e32 v4, 1.0, v4
	global_store_dword v[0:1], v4, off
	global_load_dword v4, v[2:3], off
	s_waitcnt vmcnt(0)
	v_add_f32_e32 v4, 1.0, v4
	global_store_dword v[0:1], v4, off offset:4
	global_load_dword v5, v[2:3], off offset:4
	s_nop 0
	global_store_dword v[2:3], v4, off
	s_waitcnt vmcnt(1)
	global_store_dword v[0:1], v5, off
	v_cmp_lt_f32_e32 vcc, 0, v5
	s_and_saveexec_b64 s[0:1], vcc
	s_cbranch_execz .LBB6_3
; %bb.2:
	global_load_dword v6, v[2:3], off
	s_waitcnt vmcnt(0)
	v_div_scale_f32 v7, s[2:3], v5, v5, v6
	v_div_scale_f32 v8, vcc, v6, v5, v6
	v_rcp_f32_e32 v9, v7
	v_fma_f32 v10, -v7, v9, 1.0
	v_fmac_f32_e32 v9, v10, v9
	v_mul_f32_e32 v10, v8, v9
	v_fma_f32 v11, -v7, v10, v8
	v_fmac_f32_e32 v10, v11, v9
	v_fma_f32 v7, -v7, v10, v8
	v_div_fmas_f32 v7, v7, v9, v10
	v_div_fixup_f32 v5, v7, v5, v6
	global_store_dword v[2:3], v5, off
	global_load_dword v5, v[0:1], off
.LBB6_3:
	s_or_b64 exec, exec, s[0:1]
	global_load_dword v2, v[2:3], off offset:8
	v_add_f32_e32 v3, -1.0, v4
	s_waitcnt vmcnt(0)
	v_mul_f32_e32 v2, v5, v2
	global_store_dwordx2 v[0:1], v[2:3], off
.LBB6_4:
	s_endpgm
	.section	.rodata,"a",@progbits
	.p2align	6, 0x0
	.amdhsa_kernel _Z17testOperationsGPUI15HIP_vector_typeIfLj3EES0_IfLj1EEEvPT_S4_i
		.amdhsa_group_segment_fixed_size 0
		.amdhsa_private_segment_fixed_size 0
		.amdhsa_kernarg_size 20
		.amdhsa_user_sgpr_count 6
		.amdhsa_user_sgpr_private_segment_buffer 1
		.amdhsa_user_sgpr_dispatch_ptr 0
		.amdhsa_user_sgpr_queue_ptr 0
		.amdhsa_user_sgpr_kernarg_segment_ptr 1
		.amdhsa_user_sgpr_dispatch_id 0
		.amdhsa_user_sgpr_flat_scratch_init 0
		.amdhsa_user_sgpr_private_segment_size 0
		.amdhsa_uses_dynamic_stack 0
		.amdhsa_system_sgpr_private_segment_wavefront_offset 0
		.amdhsa_system_sgpr_workgroup_id_x 1
		.amdhsa_system_sgpr_workgroup_id_y 0
		.amdhsa_system_sgpr_workgroup_id_z 0
		.amdhsa_system_sgpr_workgroup_info 0
		.amdhsa_system_vgpr_workitem_id 0
		.amdhsa_next_free_vgpr 12
		.amdhsa_next_free_sgpr 6
		.amdhsa_reserve_vcc 1
		.amdhsa_reserve_flat_scratch 0
		.amdhsa_float_round_mode_32 0
		.amdhsa_float_round_mode_16_64 0
		.amdhsa_float_denorm_mode_32 3
		.amdhsa_float_denorm_mode_16_64 3
		.amdhsa_dx10_clamp 1
		.amdhsa_ieee_mode 1
		.amdhsa_fp16_overflow 0
		.amdhsa_exception_fp_ieee_invalid_op 0
		.amdhsa_exception_fp_denorm_src 0
		.amdhsa_exception_fp_ieee_div_zero 0
		.amdhsa_exception_fp_ieee_overflow 0
		.amdhsa_exception_fp_ieee_underflow 0
		.amdhsa_exception_fp_ieee_inexact 0
		.amdhsa_exception_int_div_zero 0
	.end_amdhsa_kernel
	.section	.text._Z17testOperationsGPUI15HIP_vector_typeIfLj3EES0_IfLj1EEEvPT_S4_i,"axG",@progbits,_Z17testOperationsGPUI15HIP_vector_typeIfLj3EES0_IfLj1EEEvPT_S4_i,comdat
.Lfunc_end6:
	.size	_Z17testOperationsGPUI15HIP_vector_typeIfLj3EES0_IfLj1EEEvPT_S4_i, .Lfunc_end6-_Z17testOperationsGPUI15HIP_vector_typeIfLj3EES0_IfLj1EEEvPT_S4_i
                                        ; -- End function
	.set _Z17testOperationsGPUI15HIP_vector_typeIfLj3EES0_IfLj1EEEvPT_S4_i.num_vgpr, 12
	.set _Z17testOperationsGPUI15HIP_vector_typeIfLj3EES0_IfLj1EEEvPT_S4_i.num_agpr, 0
	.set _Z17testOperationsGPUI15HIP_vector_typeIfLj3EES0_IfLj1EEEvPT_S4_i.numbered_sgpr, 6
	.set _Z17testOperationsGPUI15HIP_vector_typeIfLj3EES0_IfLj1EEEvPT_S4_i.num_named_barrier, 0
	.set _Z17testOperationsGPUI15HIP_vector_typeIfLj3EES0_IfLj1EEEvPT_S4_i.private_seg_size, 0
	.set _Z17testOperationsGPUI15HIP_vector_typeIfLj3EES0_IfLj1EEEvPT_S4_i.uses_vcc, 1
	.set _Z17testOperationsGPUI15HIP_vector_typeIfLj3EES0_IfLj1EEEvPT_S4_i.uses_flat_scratch, 0
	.set _Z17testOperationsGPUI15HIP_vector_typeIfLj3EES0_IfLj1EEEvPT_S4_i.has_dyn_sized_stack, 0
	.set _Z17testOperationsGPUI15HIP_vector_typeIfLj3EES0_IfLj1EEEvPT_S4_i.has_recursion, 0
	.set _Z17testOperationsGPUI15HIP_vector_typeIfLj3EES0_IfLj1EEEvPT_S4_i.has_indirect_call, 0
	.section	.AMDGPU.csdata,"",@progbits
; Kernel info:
; codeLenInByte = 308
; TotalNumSgprs: 10
; NumVgprs: 12
; ScratchSize: 0
; MemoryBound: 0
; FloatMode: 240
; IeeeMode: 1
; LDSByteSize: 0 bytes/workgroup (compile time only)
; SGPRBlocks: 1
; VGPRBlocks: 2
; NumSGPRsForWavesPerEU: 10
; NumVGPRsForWavesPerEU: 12
; Occupancy: 10
; WaveLimiterHint : 0
; COMPUTE_PGM_RSRC2:SCRATCH_EN: 0
; COMPUTE_PGM_RSRC2:USER_SGPR: 6
; COMPUTE_PGM_RSRC2:TRAP_HANDLER: 0
; COMPUTE_PGM_RSRC2:TGID_X_EN: 1
; COMPUTE_PGM_RSRC2:TGID_Y_EN: 0
; COMPUTE_PGM_RSRC2:TGID_Z_EN: 0
; COMPUTE_PGM_RSRC2:TIDIG_COMP_CNT: 0
	.section	.text._Z17testOperationsGPUI15HIP_vector_typeIfLj4EES0_IfLj1EEEvPT_S4_i,"axG",@progbits,_Z17testOperationsGPUI15HIP_vector_typeIfLj4EES0_IfLj1EEEvPT_S4_i,comdat
	.protected	_Z17testOperationsGPUI15HIP_vector_typeIfLj4EES0_IfLj1EEEvPT_S4_i ; -- Begin function _Z17testOperationsGPUI15HIP_vector_typeIfLj4EES0_IfLj1EEEvPT_S4_i
	.globl	_Z17testOperationsGPUI15HIP_vector_typeIfLj4EES0_IfLj1EEEvPT_S4_i
	.p2align	8
	.type	_Z17testOperationsGPUI15HIP_vector_typeIfLj4EES0_IfLj1EEEvPT_S4_i,@function
_Z17testOperationsGPUI15HIP_vector_typeIfLj4EES0_IfLj1EEEvPT_S4_i: ; @_Z17testOperationsGPUI15HIP_vector_typeIfLj4EES0_IfLj1EEEvPT_S4_i
; %bb.0:
	s_load_dword s0, s[4:5], 0x10
	s_waitcnt lgkmcnt(0)
	v_cmp_ge_i32_e32 vcc, s0, v0
	s_and_saveexec_b64 s[0:1], vcc
	s_cbranch_execz .LBB7_4
; %bb.1:
	s_load_dwordx4 s[0:3], s[4:5], 0x0
	v_lshlrev_b32_e32 v6, 4, v0
	s_waitcnt lgkmcnt(0)
	global_load_dword v0, v6, s[2:3]
	global_load_dword v1, v6, s[0:1]
	v_mov_b32_e32 v3, s3
	s_waitcnt vmcnt(0)
	v_add_f32_e32 v0, v0, v1
	v_add_f32_e32 v0, 1.0, v0
	global_store_dword v6, v0, s[0:1]
	global_load_dword v0, v6, s[2:3]
	v_mov_b32_e32 v1, s1
	s_waitcnt vmcnt(0)
	v_add_f32_e32 v4, 1.0, v0
	global_store_dword v6, v4, s[0:1] offset:4
	global_load_dword v5, v6, s[2:3] offset:4
	v_add_co_u32_e32 v0, vcc, s0, v6
	v_addc_co_u32_e32 v1, vcc, 0, v1, vcc
	v_add_co_u32_e32 v2, vcc, s2, v6
	v_addc_co_u32_e32 v3, vcc, 0, v3, vcc
	global_store_dword v6, v4, s[2:3]
	s_waitcnt vmcnt(1)
	global_store_dword v6, v5, s[0:1]
	v_cmp_lt_f32_e32 vcc, 0, v5
	s_and_saveexec_b64 s[0:1], vcc
	s_cbranch_execz .LBB7_3
; %bb.2:
	global_load_dword v6, v[2:3], off
	s_waitcnt vmcnt(0)
	v_div_scale_f32 v7, s[2:3], v5, v5, v6
	v_div_scale_f32 v8, vcc, v6, v5, v6
	v_rcp_f32_e32 v9, v7
	v_fma_f32 v10, -v7, v9, 1.0
	v_fmac_f32_e32 v9, v10, v9
	v_mul_f32_e32 v10, v8, v9
	v_fma_f32 v11, -v7, v10, v8
	v_fmac_f32_e32 v10, v11, v9
	v_fma_f32 v7, -v7, v10, v8
	v_div_fmas_f32 v7, v7, v9, v10
	v_div_fixup_f32 v5, v7, v5, v6
	global_store_dword v[2:3], v5, off
	global_load_dword v5, v[0:1], off
.LBB7_3:
	s_or_b64 exec, exec, s[0:1]
	global_load_dword v7, v[2:3], off offset:8
	v_add_f32_e32 v6, -1.0, v4
	s_waitcnt vmcnt(0)
	v_mul_f32_e32 v5, v5, v7
	global_store_dwordx2 v[0:1], v[5:6], off
	global_store_dword v[2:3], v5, off offset:12
	global_load_dword v4, v[2:3], off offset:4
	s_nop 0
	global_load_dword v5, v[0:1], off offset:12
	s_waitcnt vmcnt(0)
	v_sub_f32_e32 v2, v5, v4
	global_store_dword v[0:1], v2, off offset:12
.LBB7_4:
	s_endpgm
	.section	.rodata,"a",@progbits
	.p2align	6, 0x0
	.amdhsa_kernel _Z17testOperationsGPUI15HIP_vector_typeIfLj4EES0_IfLj1EEEvPT_S4_i
		.amdhsa_group_segment_fixed_size 0
		.amdhsa_private_segment_fixed_size 0
		.amdhsa_kernarg_size 20
		.amdhsa_user_sgpr_count 6
		.amdhsa_user_sgpr_private_segment_buffer 1
		.amdhsa_user_sgpr_dispatch_ptr 0
		.amdhsa_user_sgpr_queue_ptr 0
		.amdhsa_user_sgpr_kernarg_segment_ptr 1
		.amdhsa_user_sgpr_dispatch_id 0
		.amdhsa_user_sgpr_flat_scratch_init 0
		.amdhsa_user_sgpr_private_segment_size 0
		.amdhsa_uses_dynamic_stack 0
		.amdhsa_system_sgpr_private_segment_wavefront_offset 0
		.amdhsa_system_sgpr_workgroup_id_x 1
		.amdhsa_system_sgpr_workgroup_id_y 0
		.amdhsa_system_sgpr_workgroup_id_z 0
		.amdhsa_system_sgpr_workgroup_info 0
		.amdhsa_system_vgpr_workitem_id 0
		.amdhsa_next_free_vgpr 12
		.amdhsa_next_free_sgpr 6
		.amdhsa_reserve_vcc 1
		.amdhsa_reserve_flat_scratch 0
		.amdhsa_float_round_mode_32 0
		.amdhsa_float_round_mode_16_64 0
		.amdhsa_float_denorm_mode_32 3
		.amdhsa_float_denorm_mode_16_64 3
		.amdhsa_dx10_clamp 1
		.amdhsa_ieee_mode 1
		.amdhsa_fp16_overflow 0
		.amdhsa_exception_fp_ieee_invalid_op 0
		.amdhsa_exception_fp_denorm_src 0
		.amdhsa_exception_fp_ieee_div_zero 0
		.amdhsa_exception_fp_ieee_overflow 0
		.amdhsa_exception_fp_ieee_underflow 0
		.amdhsa_exception_fp_ieee_inexact 0
		.amdhsa_exception_int_div_zero 0
	.end_amdhsa_kernel
	.section	.text._Z17testOperationsGPUI15HIP_vector_typeIfLj4EES0_IfLj1EEEvPT_S4_i,"axG",@progbits,_Z17testOperationsGPUI15HIP_vector_typeIfLj4EES0_IfLj1EEEvPT_S4_i,comdat
.Lfunc_end7:
	.size	_Z17testOperationsGPUI15HIP_vector_typeIfLj4EES0_IfLj1EEEvPT_S4_i, .Lfunc_end7-_Z17testOperationsGPUI15HIP_vector_typeIfLj4EES0_IfLj1EEEvPT_S4_i
                                        ; -- End function
	.set _Z17testOperationsGPUI15HIP_vector_typeIfLj4EES0_IfLj1EEEvPT_S4_i.num_vgpr, 12
	.set _Z17testOperationsGPUI15HIP_vector_typeIfLj4EES0_IfLj1EEEvPT_S4_i.num_agpr, 0
	.set _Z17testOperationsGPUI15HIP_vector_typeIfLj4EES0_IfLj1EEEvPT_S4_i.numbered_sgpr, 6
	.set _Z17testOperationsGPUI15HIP_vector_typeIfLj4EES0_IfLj1EEEvPT_S4_i.num_named_barrier, 0
	.set _Z17testOperationsGPUI15HIP_vector_typeIfLj4EES0_IfLj1EEEvPT_S4_i.private_seg_size, 0
	.set _Z17testOperationsGPUI15HIP_vector_typeIfLj4EES0_IfLj1EEEvPT_S4_i.uses_vcc, 1
	.set _Z17testOperationsGPUI15HIP_vector_typeIfLj4EES0_IfLj1EEEvPT_S4_i.uses_flat_scratch, 0
	.set _Z17testOperationsGPUI15HIP_vector_typeIfLj4EES0_IfLj1EEEvPT_S4_i.has_dyn_sized_stack, 0
	.set _Z17testOperationsGPUI15HIP_vector_typeIfLj4EES0_IfLj1EEEvPT_S4_i.has_recursion, 0
	.set _Z17testOperationsGPUI15HIP_vector_typeIfLj4EES0_IfLj1EEEvPT_S4_i.has_indirect_call, 0
	.section	.AMDGPU.csdata,"",@progbits
; Kernel info:
; codeLenInByte = 344
; TotalNumSgprs: 10
; NumVgprs: 12
; ScratchSize: 0
; MemoryBound: 0
; FloatMode: 240
; IeeeMode: 1
; LDSByteSize: 0 bytes/workgroup (compile time only)
; SGPRBlocks: 1
; VGPRBlocks: 2
; NumSGPRsForWavesPerEU: 10
; NumVGPRsForWavesPerEU: 12
; Occupancy: 10
; WaveLimiterHint : 0
; COMPUTE_PGM_RSRC2:SCRATCH_EN: 0
; COMPUTE_PGM_RSRC2:USER_SGPR: 6
; COMPUTE_PGM_RSRC2:TRAP_HANDLER: 0
; COMPUTE_PGM_RSRC2:TGID_X_EN: 1
; COMPUTE_PGM_RSRC2:TGID_Y_EN: 0
; COMPUTE_PGM_RSRC2:TGID_Z_EN: 0
; COMPUTE_PGM_RSRC2:TIDIG_COMP_CNT: 0
	.section	.text._Z17testOperationsGPUI15HIP_vector_typeIiLj1EES1_EvPT_S3_i,"axG",@progbits,_Z17testOperationsGPUI15HIP_vector_typeIiLj1EES1_EvPT_S3_i,comdat
	.protected	_Z17testOperationsGPUI15HIP_vector_typeIiLj1EES1_EvPT_S3_i ; -- Begin function _Z17testOperationsGPUI15HIP_vector_typeIiLj1EES1_EvPT_S3_i
	.globl	_Z17testOperationsGPUI15HIP_vector_typeIiLj1EES1_EvPT_S3_i
	.p2align	8
	.type	_Z17testOperationsGPUI15HIP_vector_typeIiLj1EES1_EvPT_S3_i,@function
_Z17testOperationsGPUI15HIP_vector_typeIiLj1EES1_EvPT_S3_i: ; @_Z17testOperationsGPUI15HIP_vector_typeIiLj1EES1_EvPT_S3_i
; %bb.0:
	s_load_dword s0, s[4:5], 0x10
	s_waitcnt lgkmcnt(0)
	v_cmp_ge_i32_e32 vcc, s0, v0
	s_and_saveexec_b64 s[0:1], vcc
	s_cbranch_execz .LBB8_2
; %bb.1:
	s_load_dwordx4 s[0:3], s[4:5], 0x0
	v_lshlrev_b32_e32 v0, 2, v0
	s_waitcnt lgkmcnt(0)
	global_load_dword v1, v0, s[2:3]
	global_load_dword v2, v0, s[0:1]
	s_waitcnt vmcnt(0)
	v_add3_u32 v1, v1, v2, 1
	global_store_dword v0, v1, s[0:1]
	global_load_dword v1, v0, s[2:3]
	s_waitcnt vmcnt(0)
	v_add_u32_e32 v1, 1, v1
	global_store_dword v0, v1, s[2:3]
.LBB8_2:
	s_endpgm
	.section	.rodata,"a",@progbits
	.p2align	6, 0x0
	.amdhsa_kernel _Z17testOperationsGPUI15HIP_vector_typeIiLj1EES1_EvPT_S3_i
		.amdhsa_group_segment_fixed_size 0
		.amdhsa_private_segment_fixed_size 0
		.amdhsa_kernarg_size 20
		.amdhsa_user_sgpr_count 6
		.amdhsa_user_sgpr_private_segment_buffer 1
		.amdhsa_user_sgpr_dispatch_ptr 0
		.amdhsa_user_sgpr_queue_ptr 0
		.amdhsa_user_sgpr_kernarg_segment_ptr 1
		.amdhsa_user_sgpr_dispatch_id 0
		.amdhsa_user_sgpr_flat_scratch_init 0
		.amdhsa_user_sgpr_private_segment_size 0
		.amdhsa_uses_dynamic_stack 0
		.amdhsa_system_sgpr_private_segment_wavefront_offset 0
		.amdhsa_system_sgpr_workgroup_id_x 1
		.amdhsa_system_sgpr_workgroup_id_y 0
		.amdhsa_system_sgpr_workgroup_id_z 0
		.amdhsa_system_sgpr_workgroup_info 0
		.amdhsa_system_vgpr_workitem_id 0
		.amdhsa_next_free_vgpr 3
		.amdhsa_next_free_sgpr 6
		.amdhsa_reserve_vcc 1
		.amdhsa_reserve_flat_scratch 0
		.amdhsa_float_round_mode_32 0
		.amdhsa_float_round_mode_16_64 0
		.amdhsa_float_denorm_mode_32 3
		.amdhsa_float_denorm_mode_16_64 3
		.amdhsa_dx10_clamp 1
		.amdhsa_ieee_mode 1
		.amdhsa_fp16_overflow 0
		.amdhsa_exception_fp_ieee_invalid_op 0
		.amdhsa_exception_fp_denorm_src 0
		.amdhsa_exception_fp_ieee_div_zero 0
		.amdhsa_exception_fp_ieee_overflow 0
		.amdhsa_exception_fp_ieee_underflow 0
		.amdhsa_exception_fp_ieee_inexact 0
		.amdhsa_exception_int_div_zero 0
	.end_amdhsa_kernel
	.section	.text._Z17testOperationsGPUI15HIP_vector_typeIiLj1EES1_EvPT_S3_i,"axG",@progbits,_Z17testOperationsGPUI15HIP_vector_typeIiLj1EES1_EvPT_S3_i,comdat
.Lfunc_end8:
	.size	_Z17testOperationsGPUI15HIP_vector_typeIiLj1EES1_EvPT_S3_i, .Lfunc_end8-_Z17testOperationsGPUI15HIP_vector_typeIiLj1EES1_EvPT_S3_i
                                        ; -- End function
	.set _Z17testOperationsGPUI15HIP_vector_typeIiLj1EES1_EvPT_S3_i.num_vgpr, 3
	.set _Z17testOperationsGPUI15HIP_vector_typeIiLj1EES1_EvPT_S3_i.num_agpr, 0
	.set _Z17testOperationsGPUI15HIP_vector_typeIiLj1EES1_EvPT_S3_i.numbered_sgpr, 6
	.set _Z17testOperationsGPUI15HIP_vector_typeIiLj1EES1_EvPT_S3_i.num_named_barrier, 0
	.set _Z17testOperationsGPUI15HIP_vector_typeIiLj1EES1_EvPT_S3_i.private_seg_size, 0
	.set _Z17testOperationsGPUI15HIP_vector_typeIiLj1EES1_EvPT_S3_i.uses_vcc, 1
	.set _Z17testOperationsGPUI15HIP_vector_typeIiLj1EES1_EvPT_S3_i.uses_flat_scratch, 0
	.set _Z17testOperationsGPUI15HIP_vector_typeIiLj1EES1_EvPT_S3_i.has_dyn_sized_stack, 0
	.set _Z17testOperationsGPUI15HIP_vector_typeIiLj1EES1_EvPT_S3_i.has_recursion, 0
	.set _Z17testOperationsGPUI15HIP_vector_typeIiLj1EES1_EvPT_S3_i.has_indirect_call, 0
	.section	.AMDGPU.csdata,"",@progbits
; Kernel info:
; codeLenInByte = 104
; TotalNumSgprs: 10
; NumVgprs: 3
; ScratchSize: 0
; MemoryBound: 0
; FloatMode: 240
; IeeeMode: 1
; LDSByteSize: 0 bytes/workgroup (compile time only)
; SGPRBlocks: 1
; VGPRBlocks: 0
; NumSGPRsForWavesPerEU: 10
; NumVGPRsForWavesPerEU: 3
; Occupancy: 10
; WaveLimiterHint : 0
; COMPUTE_PGM_RSRC2:SCRATCH_EN: 0
; COMPUTE_PGM_RSRC2:USER_SGPR: 6
; COMPUTE_PGM_RSRC2:TRAP_HANDLER: 0
; COMPUTE_PGM_RSRC2:TGID_X_EN: 1
; COMPUTE_PGM_RSRC2:TGID_Y_EN: 0
; COMPUTE_PGM_RSRC2:TGID_Z_EN: 0
; COMPUTE_PGM_RSRC2:TIDIG_COMP_CNT: 0
	.section	.text._Z17testOperationsGPUI15HIP_vector_typeIiLj2EES0_IiLj1EEEvPT_S4_i,"axG",@progbits,_Z17testOperationsGPUI15HIP_vector_typeIiLj2EES0_IiLj1EEEvPT_S4_i,comdat
	.protected	_Z17testOperationsGPUI15HIP_vector_typeIiLj2EES0_IiLj1EEEvPT_S4_i ; -- Begin function _Z17testOperationsGPUI15HIP_vector_typeIiLj2EES0_IiLj1EEEvPT_S4_i
	.globl	_Z17testOperationsGPUI15HIP_vector_typeIiLj2EES0_IiLj1EEEvPT_S4_i
	.p2align	8
	.type	_Z17testOperationsGPUI15HIP_vector_typeIiLj2EES0_IiLj1EEEvPT_S4_i,@function
_Z17testOperationsGPUI15HIP_vector_typeIiLj2EES0_IiLj1EEEvPT_S4_i: ; @_Z17testOperationsGPUI15HIP_vector_typeIiLj2EES0_IiLj1EEEvPT_S4_i
; %bb.0:
	s_load_dword s0, s[4:5], 0x10
	s_waitcnt lgkmcnt(0)
	v_cmp_ge_i32_e32 vcc, s0, v0
	s_and_saveexec_b64 s[0:1], vcc
	s_cbranch_execz .LBB9_2
; %bb.1:
	s_load_dwordx4 s[0:3], s[4:5], 0x0
	v_lshlrev_b32_e32 v0, 3, v0
	s_waitcnt lgkmcnt(0)
	global_load_dword v1, v0, s[2:3]
	global_load_dword v2, v0, s[0:1]
	s_waitcnt vmcnt(0)
	v_add3_u32 v1, v1, v2, 1
	global_store_dword v0, v1, s[0:1]
	global_load_dword v1, v0, s[2:3]
	s_waitcnt vmcnt(0)
	v_add_u32_e32 v1, 1, v1
	global_store_dword v0, v1, s[0:1] offset:4
	global_load_dword v2, v0, s[2:3] offset:4
	s_nop 0
	global_store_dword v0, v1, s[2:3]
	s_waitcnt vmcnt(1)
	global_store_dword v0, v2, s[0:1]
.LBB9_2:
	s_endpgm
	.section	.rodata,"a",@progbits
	.p2align	6, 0x0
	.amdhsa_kernel _Z17testOperationsGPUI15HIP_vector_typeIiLj2EES0_IiLj1EEEvPT_S4_i
		.amdhsa_group_segment_fixed_size 0
		.amdhsa_private_segment_fixed_size 0
		.amdhsa_kernarg_size 20
		.amdhsa_user_sgpr_count 6
		.amdhsa_user_sgpr_private_segment_buffer 1
		.amdhsa_user_sgpr_dispatch_ptr 0
		.amdhsa_user_sgpr_queue_ptr 0
		.amdhsa_user_sgpr_kernarg_segment_ptr 1
		.amdhsa_user_sgpr_dispatch_id 0
		.amdhsa_user_sgpr_flat_scratch_init 0
		.amdhsa_user_sgpr_private_segment_size 0
		.amdhsa_uses_dynamic_stack 0
		.amdhsa_system_sgpr_private_segment_wavefront_offset 0
		.amdhsa_system_sgpr_workgroup_id_x 1
		.amdhsa_system_sgpr_workgroup_id_y 0
		.amdhsa_system_sgpr_workgroup_id_z 0
		.amdhsa_system_sgpr_workgroup_info 0
		.amdhsa_system_vgpr_workitem_id 0
		.amdhsa_next_free_vgpr 3
		.amdhsa_next_free_sgpr 6
		.amdhsa_reserve_vcc 1
		.amdhsa_reserve_flat_scratch 0
		.amdhsa_float_round_mode_32 0
		.amdhsa_float_round_mode_16_64 0
		.amdhsa_float_denorm_mode_32 3
		.amdhsa_float_denorm_mode_16_64 3
		.amdhsa_dx10_clamp 1
		.amdhsa_ieee_mode 1
		.amdhsa_fp16_overflow 0
		.amdhsa_exception_fp_ieee_invalid_op 0
		.amdhsa_exception_fp_denorm_src 0
		.amdhsa_exception_fp_ieee_div_zero 0
		.amdhsa_exception_fp_ieee_overflow 0
		.amdhsa_exception_fp_ieee_underflow 0
		.amdhsa_exception_fp_ieee_inexact 0
		.amdhsa_exception_int_div_zero 0
	.end_amdhsa_kernel
	.section	.text._Z17testOperationsGPUI15HIP_vector_typeIiLj2EES0_IiLj1EEEvPT_S4_i,"axG",@progbits,_Z17testOperationsGPUI15HIP_vector_typeIiLj2EES0_IiLj1EEEvPT_S4_i,comdat
.Lfunc_end9:
	.size	_Z17testOperationsGPUI15HIP_vector_typeIiLj2EES0_IiLj1EEEvPT_S4_i, .Lfunc_end9-_Z17testOperationsGPUI15HIP_vector_typeIiLj2EES0_IiLj1EEEvPT_S4_i
                                        ; -- End function
	.set _Z17testOperationsGPUI15HIP_vector_typeIiLj2EES0_IiLj1EEEvPT_S4_i.num_vgpr, 3
	.set _Z17testOperationsGPUI15HIP_vector_typeIiLj2EES0_IiLj1EEEvPT_S4_i.num_agpr, 0
	.set _Z17testOperationsGPUI15HIP_vector_typeIiLj2EES0_IiLj1EEEvPT_S4_i.numbered_sgpr, 6
	.set _Z17testOperationsGPUI15HIP_vector_typeIiLj2EES0_IiLj1EEEvPT_S4_i.num_named_barrier, 0
	.set _Z17testOperationsGPUI15HIP_vector_typeIiLj2EES0_IiLj1EEEvPT_S4_i.private_seg_size, 0
	.set _Z17testOperationsGPUI15HIP_vector_typeIiLj2EES0_IiLj1EEEvPT_S4_i.uses_vcc, 1
	.set _Z17testOperationsGPUI15HIP_vector_typeIiLj2EES0_IiLj1EEEvPT_S4_i.uses_flat_scratch, 0
	.set _Z17testOperationsGPUI15HIP_vector_typeIiLj2EES0_IiLj1EEEvPT_S4_i.has_dyn_sized_stack, 0
	.set _Z17testOperationsGPUI15HIP_vector_typeIiLj2EES0_IiLj1EEEvPT_S4_i.has_recursion, 0
	.set _Z17testOperationsGPUI15HIP_vector_typeIiLj2EES0_IiLj1EEEvPT_S4_i.has_indirect_call, 0
	.section	.AMDGPU.csdata,"",@progbits
; Kernel info:
; codeLenInByte = 136
; TotalNumSgprs: 10
; NumVgprs: 3
; ScratchSize: 0
; MemoryBound: 0
; FloatMode: 240
; IeeeMode: 1
; LDSByteSize: 0 bytes/workgroup (compile time only)
; SGPRBlocks: 1
; VGPRBlocks: 0
; NumSGPRsForWavesPerEU: 10
; NumVGPRsForWavesPerEU: 3
; Occupancy: 10
; WaveLimiterHint : 0
; COMPUTE_PGM_RSRC2:SCRATCH_EN: 0
; COMPUTE_PGM_RSRC2:USER_SGPR: 6
; COMPUTE_PGM_RSRC2:TRAP_HANDLER: 0
; COMPUTE_PGM_RSRC2:TGID_X_EN: 1
; COMPUTE_PGM_RSRC2:TGID_Y_EN: 0
; COMPUTE_PGM_RSRC2:TGID_Z_EN: 0
; COMPUTE_PGM_RSRC2:TIDIG_COMP_CNT: 0
	.section	.text._Z17testOperationsGPUI15HIP_vector_typeIiLj3EES0_IiLj1EEEvPT_S4_i,"axG",@progbits,_Z17testOperationsGPUI15HIP_vector_typeIiLj3EES0_IiLj1EEEvPT_S4_i,comdat
	.protected	_Z17testOperationsGPUI15HIP_vector_typeIiLj3EES0_IiLj1EEEvPT_S4_i ; -- Begin function _Z17testOperationsGPUI15HIP_vector_typeIiLj3EES0_IiLj1EEEvPT_S4_i
	.globl	_Z17testOperationsGPUI15HIP_vector_typeIiLj3EES0_IiLj1EEEvPT_S4_i
	.p2align	8
	.type	_Z17testOperationsGPUI15HIP_vector_typeIiLj3EES0_IiLj1EEEvPT_S4_i,@function
_Z17testOperationsGPUI15HIP_vector_typeIiLj3EES0_IiLj1EEEvPT_S4_i: ; @_Z17testOperationsGPUI15HIP_vector_typeIiLj3EES0_IiLj1EEEvPT_S4_i
; %bb.0:
	s_load_dword s0, s[4:5], 0x10
	s_waitcnt lgkmcnt(0)
	v_cmp_ge_i32_e32 vcc, s0, v0
	s_and_saveexec_b64 s[0:1], vcc
	s_cbranch_execz .LBB10_4
; %bb.1:
	s_load_dwordx4 s[0:3], s[4:5], 0x0
	s_waitcnt lgkmcnt(0)
	v_mov_b32_e32 v1, s2
	v_mov_b32_e32 v2, s3
	;; [unrolled: 1-line block ×4, first 2 shown]
	v_mad_u64_u32 v[2:3], s[0:1], v0, 12, v[1:2]
	v_mad_u64_u32 v[0:1], s[0:1], v0, 12, v[4:5]
	global_load_dword v4, v[2:3], off
	global_load_dword v5, v[0:1], off
	s_waitcnt vmcnt(0)
	v_add3_u32 v4, v4, v5, 1
	global_store_dword v[0:1], v4, off
	global_load_dword v4, v[2:3], off
	s_waitcnt vmcnt(0)
	v_add_u32_e32 v6, 1, v4
	global_store_dword v[0:1], v6, off offset:4
	global_load_dword v5, v[2:3], off offset:4
	s_nop 0
	global_store_dword v[2:3], v6, off
	s_waitcnt vmcnt(1)
	global_store_dword v[0:1], v5, off
	v_cmp_lt_i32_e32 vcc, 0, v5
	s_and_saveexec_b64 s[0:1], vcc
	s_cbranch_execz .LBB10_3
; %bb.2:
	global_load_dword v6, v[2:3], off
	v_sub_u32_e32 v7, 0, v5
	v_max_i32_e32 v7, v5, v7
	v_cvt_f32_u32_e32 v8, v7
	v_sub_u32_e32 v9, 0, v7
	v_rcp_iflag_f32_e32 v8, v8
	v_mul_f32_e32 v8, 0x4f7ffffe, v8
	v_cvt_u32_f32_e32 v8, v8
	v_mul_lo_u32 v9, v9, v8
	v_mul_hi_u32 v9, v8, v9
	v_add_u32_e32 v8, v8, v9
	s_waitcnt vmcnt(0)
	v_sub_u32_e32 v9, 0, v6
	v_max_i32_e32 v9, v6, v9
	v_mul_hi_u32 v8, v9, v8
	v_xor_b32_e32 v5, v6, v5
	v_ashrrev_i32_e32 v5, 31, v5
	v_mul_lo_u32 v10, v8, v7
	v_add_u32_e32 v6, 1, v8
	v_sub_u32_e32 v9, v9, v10
	v_cmp_ge_u32_e32 vcc, v9, v7
	v_cndmask_b32_e32 v6, v8, v6, vcc
	v_sub_u32_e32 v8, v9, v7
	v_cndmask_b32_e32 v8, v9, v8, vcc
	v_add_u32_e32 v9, 1, v6
	v_cmp_ge_u32_e32 vcc, v8, v7
	v_cndmask_b32_e32 v6, v6, v9, vcc
	v_xor_b32_e32 v6, v6, v5
	v_sub_u32_e32 v5, v6, v5
	global_store_dword v[2:3], v5, off
	global_load_dword v5, v[0:1], off
.LBB10_3:
	s_or_b64 exec, exec, s[0:1]
	global_load_dword v2, v[2:3], off offset:8
	s_waitcnt vmcnt(0)
	v_mul_lo_u32 v3, v2, v5
	global_store_dwordx2 v[0:1], v[3:4], off
.LBB10_4:
	s_endpgm
	.section	.rodata,"a",@progbits
	.p2align	6, 0x0
	.amdhsa_kernel _Z17testOperationsGPUI15HIP_vector_typeIiLj3EES0_IiLj1EEEvPT_S4_i
		.amdhsa_group_segment_fixed_size 0
		.amdhsa_private_segment_fixed_size 0
		.amdhsa_kernarg_size 20
		.amdhsa_user_sgpr_count 6
		.amdhsa_user_sgpr_private_segment_buffer 1
		.amdhsa_user_sgpr_dispatch_ptr 0
		.amdhsa_user_sgpr_queue_ptr 0
		.amdhsa_user_sgpr_kernarg_segment_ptr 1
		.amdhsa_user_sgpr_dispatch_id 0
		.amdhsa_user_sgpr_flat_scratch_init 0
		.amdhsa_user_sgpr_private_segment_size 0
		.amdhsa_uses_dynamic_stack 0
		.amdhsa_system_sgpr_private_segment_wavefront_offset 0
		.amdhsa_system_sgpr_workgroup_id_x 1
		.amdhsa_system_sgpr_workgroup_id_y 0
		.amdhsa_system_sgpr_workgroup_id_z 0
		.amdhsa_system_sgpr_workgroup_info 0
		.amdhsa_system_vgpr_workitem_id 0
		.amdhsa_next_free_vgpr 11
		.amdhsa_next_free_sgpr 6
		.amdhsa_reserve_vcc 1
		.amdhsa_reserve_flat_scratch 0
		.amdhsa_float_round_mode_32 0
		.amdhsa_float_round_mode_16_64 0
		.amdhsa_float_denorm_mode_32 3
		.amdhsa_float_denorm_mode_16_64 3
		.amdhsa_dx10_clamp 1
		.amdhsa_ieee_mode 1
		.amdhsa_fp16_overflow 0
		.amdhsa_exception_fp_ieee_invalid_op 0
		.amdhsa_exception_fp_denorm_src 0
		.amdhsa_exception_fp_ieee_div_zero 0
		.amdhsa_exception_fp_ieee_overflow 0
		.amdhsa_exception_fp_ieee_underflow 0
		.amdhsa_exception_fp_ieee_inexact 0
		.amdhsa_exception_int_div_zero 0
	.end_amdhsa_kernel
	.section	.text._Z17testOperationsGPUI15HIP_vector_typeIiLj3EES0_IiLj1EEEvPT_S4_i,"axG",@progbits,_Z17testOperationsGPUI15HIP_vector_typeIiLj3EES0_IiLj1EEEvPT_S4_i,comdat
.Lfunc_end10:
	.size	_Z17testOperationsGPUI15HIP_vector_typeIiLj3EES0_IiLj1EEEvPT_S4_i, .Lfunc_end10-_Z17testOperationsGPUI15HIP_vector_typeIiLj3EES0_IiLj1EEEvPT_S4_i
                                        ; -- End function
	.set _Z17testOperationsGPUI15HIP_vector_typeIiLj3EES0_IiLj1EEEvPT_S4_i.num_vgpr, 11
	.set _Z17testOperationsGPUI15HIP_vector_typeIiLj3EES0_IiLj1EEEvPT_S4_i.num_agpr, 0
	.set _Z17testOperationsGPUI15HIP_vector_typeIiLj3EES0_IiLj1EEEvPT_S4_i.numbered_sgpr, 6
	.set _Z17testOperationsGPUI15HIP_vector_typeIiLj3EES0_IiLj1EEEvPT_S4_i.num_named_barrier, 0
	.set _Z17testOperationsGPUI15HIP_vector_typeIiLj3EES0_IiLj1EEEvPT_S4_i.private_seg_size, 0
	.set _Z17testOperationsGPUI15HIP_vector_typeIiLj3EES0_IiLj1EEEvPT_S4_i.uses_vcc, 1
	.set _Z17testOperationsGPUI15HIP_vector_typeIiLj3EES0_IiLj1EEEvPT_S4_i.uses_flat_scratch, 0
	.set _Z17testOperationsGPUI15HIP_vector_typeIiLj3EES0_IiLj1EEEvPT_S4_i.has_dyn_sized_stack, 0
	.set _Z17testOperationsGPUI15HIP_vector_typeIiLj3EES0_IiLj1EEEvPT_S4_i.has_recursion, 0
	.set _Z17testOperationsGPUI15HIP_vector_typeIiLj3EES0_IiLj1EEEvPT_S4_i.has_indirect_call, 0
	.section	.AMDGPU.csdata,"",@progbits
; Kernel info:
; codeLenInByte = 364
; TotalNumSgprs: 10
; NumVgprs: 11
; ScratchSize: 0
; MemoryBound: 0
; FloatMode: 240
; IeeeMode: 1
; LDSByteSize: 0 bytes/workgroup (compile time only)
; SGPRBlocks: 1
; VGPRBlocks: 2
; NumSGPRsForWavesPerEU: 10
; NumVGPRsForWavesPerEU: 11
; Occupancy: 10
; WaveLimiterHint : 0
; COMPUTE_PGM_RSRC2:SCRATCH_EN: 0
; COMPUTE_PGM_RSRC2:USER_SGPR: 6
; COMPUTE_PGM_RSRC2:TRAP_HANDLER: 0
; COMPUTE_PGM_RSRC2:TGID_X_EN: 1
; COMPUTE_PGM_RSRC2:TGID_Y_EN: 0
; COMPUTE_PGM_RSRC2:TGID_Z_EN: 0
; COMPUTE_PGM_RSRC2:TIDIG_COMP_CNT: 0
	.section	.text._Z17testOperationsGPUI15HIP_vector_typeIiLj4EES0_IiLj1EEEvPT_S4_i,"axG",@progbits,_Z17testOperationsGPUI15HIP_vector_typeIiLj4EES0_IiLj1EEEvPT_S4_i,comdat
	.protected	_Z17testOperationsGPUI15HIP_vector_typeIiLj4EES0_IiLj1EEEvPT_S4_i ; -- Begin function _Z17testOperationsGPUI15HIP_vector_typeIiLj4EES0_IiLj1EEEvPT_S4_i
	.globl	_Z17testOperationsGPUI15HIP_vector_typeIiLj4EES0_IiLj1EEEvPT_S4_i
	.p2align	8
	.type	_Z17testOperationsGPUI15HIP_vector_typeIiLj4EES0_IiLj1EEEvPT_S4_i,@function
_Z17testOperationsGPUI15HIP_vector_typeIiLj4EES0_IiLj1EEEvPT_S4_i: ; @_Z17testOperationsGPUI15HIP_vector_typeIiLj4EES0_IiLj1EEEvPT_S4_i
; %bb.0:
	s_load_dword s0, s[4:5], 0x10
	s_waitcnt lgkmcnt(0)
	v_cmp_ge_i32_e32 vcc, s0, v0
	s_and_saveexec_b64 s[0:1], vcc
	s_cbranch_execz .LBB11_4
; %bb.1:
	s_load_dwordx4 s[0:3], s[4:5], 0x0
	v_lshlrev_b32_e32 v6, 4, v0
	s_waitcnt lgkmcnt(0)
	global_load_dword v0, v6, s[2:3]
	global_load_dword v1, v6, s[0:1]
	v_mov_b32_e32 v3, s1
	v_add_co_u32_e32 v2, vcc, s0, v6
	v_addc_co_u32_e32 v3, vcc, 0, v3, vcc
	v_mov_b32_e32 v5, s3
	v_add_co_u32_e32 v4, vcc, s2, v6
	v_addc_co_u32_e32 v5, vcc, 0, v5, vcc
	s_waitcnt vmcnt(0)
	v_add3_u32 v0, v0, v1, 1
	global_store_dword v6, v0, s[0:1]
	global_load_dword v1, v6, s[2:3]
	s_waitcnt vmcnt(0)
	v_add_u32_e32 v7, 1, v1
	global_store_dword v6, v7, s[0:1] offset:4
	global_load_dword v0, v6, s[2:3] offset:4
	s_nop 0
	global_store_dword v6, v7, s[2:3]
	s_waitcnt vmcnt(1)
	global_store_dword v6, v0, s[0:1]
	v_cmp_lt_i32_e32 vcc, 0, v0
	s_and_saveexec_b64 s[0:1], vcc
	s_cbranch_execz .LBB11_3
; %bb.2:
	global_load_dword v6, v[4:5], off
	v_sub_u32_e32 v7, 0, v0
	v_max_i32_e32 v7, v0, v7
	v_cvt_f32_u32_e32 v8, v7
	v_sub_u32_e32 v9, 0, v7
	v_rcp_iflag_f32_e32 v8, v8
	v_mul_f32_e32 v8, 0x4f7ffffe, v8
	v_cvt_u32_f32_e32 v8, v8
	v_mul_lo_u32 v9, v9, v8
	v_mul_hi_u32 v9, v8, v9
	v_add_u32_e32 v8, v8, v9
	s_waitcnt vmcnt(0)
	v_sub_u32_e32 v9, 0, v6
	v_max_i32_e32 v9, v6, v9
	v_mul_hi_u32 v8, v9, v8
	v_xor_b32_e32 v0, v6, v0
	v_ashrrev_i32_e32 v0, 31, v0
	v_mul_lo_u32 v10, v8, v7
	v_add_u32_e32 v6, 1, v8
	v_sub_u32_e32 v9, v9, v10
	v_cmp_ge_u32_e32 vcc, v9, v7
	v_cndmask_b32_e32 v6, v8, v6, vcc
	v_sub_u32_e32 v8, v9, v7
	v_cndmask_b32_e32 v8, v9, v8, vcc
	v_add_u32_e32 v9, 1, v6
	v_cmp_ge_u32_e32 vcc, v8, v7
	v_cndmask_b32_e32 v6, v6, v9, vcc
	v_xor_b32_e32 v6, v6, v0
	v_sub_u32_e32 v0, v6, v0
	global_store_dword v[4:5], v0, off
	global_load_dword v0, v[2:3], off
.LBB11_3:
	s_or_b64 exec, exec, s[0:1]
	global_load_dword v6, v[4:5], off offset:8
	s_waitcnt vmcnt(0)
	v_mul_lo_u32 v0, v6, v0
	global_store_dwordx2 v[2:3], v[0:1], off
	global_store_dword v[4:5], v0, off offset:12
	global_load_dword v0, v[4:5], off offset:4
	s_nop 0
	global_load_dword v1, v[2:3], off offset:12
	s_waitcnt vmcnt(0)
	v_sub_u32_e32 v0, v1, v0
	global_store_dword v[2:3], v0, off offset:12
.LBB11_4:
	s_endpgm
	.section	.rodata,"a",@progbits
	.p2align	6, 0x0
	.amdhsa_kernel _Z17testOperationsGPUI15HIP_vector_typeIiLj4EES0_IiLj1EEEvPT_S4_i
		.amdhsa_group_segment_fixed_size 0
		.amdhsa_private_segment_fixed_size 0
		.amdhsa_kernarg_size 20
		.amdhsa_user_sgpr_count 6
		.amdhsa_user_sgpr_private_segment_buffer 1
		.amdhsa_user_sgpr_dispatch_ptr 0
		.amdhsa_user_sgpr_queue_ptr 0
		.amdhsa_user_sgpr_kernarg_segment_ptr 1
		.amdhsa_user_sgpr_dispatch_id 0
		.amdhsa_user_sgpr_flat_scratch_init 0
		.amdhsa_user_sgpr_private_segment_size 0
		.amdhsa_uses_dynamic_stack 0
		.amdhsa_system_sgpr_private_segment_wavefront_offset 0
		.amdhsa_system_sgpr_workgroup_id_x 1
		.amdhsa_system_sgpr_workgroup_id_y 0
		.amdhsa_system_sgpr_workgroup_id_z 0
		.amdhsa_system_sgpr_workgroup_info 0
		.amdhsa_system_vgpr_workitem_id 0
		.amdhsa_next_free_vgpr 11
		.amdhsa_next_free_sgpr 6
		.amdhsa_reserve_vcc 1
		.amdhsa_reserve_flat_scratch 0
		.amdhsa_float_round_mode_32 0
		.amdhsa_float_round_mode_16_64 0
		.amdhsa_float_denorm_mode_32 3
		.amdhsa_float_denorm_mode_16_64 3
		.amdhsa_dx10_clamp 1
		.amdhsa_ieee_mode 1
		.amdhsa_fp16_overflow 0
		.amdhsa_exception_fp_ieee_invalid_op 0
		.amdhsa_exception_fp_denorm_src 0
		.amdhsa_exception_fp_ieee_div_zero 0
		.amdhsa_exception_fp_ieee_overflow 0
		.amdhsa_exception_fp_ieee_underflow 0
		.amdhsa_exception_fp_ieee_inexact 0
		.amdhsa_exception_int_div_zero 0
	.end_amdhsa_kernel
	.section	.text._Z17testOperationsGPUI15HIP_vector_typeIiLj4EES0_IiLj1EEEvPT_S4_i,"axG",@progbits,_Z17testOperationsGPUI15HIP_vector_typeIiLj4EES0_IiLj1EEEvPT_S4_i,comdat
.Lfunc_end11:
	.size	_Z17testOperationsGPUI15HIP_vector_typeIiLj4EES0_IiLj1EEEvPT_S4_i, .Lfunc_end11-_Z17testOperationsGPUI15HIP_vector_typeIiLj4EES0_IiLj1EEEvPT_S4_i
                                        ; -- End function
	.set _Z17testOperationsGPUI15HIP_vector_typeIiLj4EES0_IiLj1EEEvPT_S4_i.num_vgpr, 11
	.set _Z17testOperationsGPUI15HIP_vector_typeIiLj4EES0_IiLj1EEEvPT_S4_i.num_agpr, 0
	.set _Z17testOperationsGPUI15HIP_vector_typeIiLj4EES0_IiLj1EEEvPT_S4_i.numbered_sgpr, 6
	.set _Z17testOperationsGPUI15HIP_vector_typeIiLj4EES0_IiLj1EEEvPT_S4_i.num_named_barrier, 0
	.set _Z17testOperationsGPUI15HIP_vector_typeIiLj4EES0_IiLj1EEEvPT_S4_i.private_seg_size, 0
	.set _Z17testOperationsGPUI15HIP_vector_typeIiLj4EES0_IiLj1EEEvPT_S4_i.uses_vcc, 1
	.set _Z17testOperationsGPUI15HIP_vector_typeIiLj4EES0_IiLj1EEEvPT_S4_i.uses_flat_scratch, 0
	.set _Z17testOperationsGPUI15HIP_vector_typeIiLj4EES0_IiLj1EEEvPT_S4_i.has_dyn_sized_stack, 0
	.set _Z17testOperationsGPUI15HIP_vector_typeIiLj4EES0_IiLj1EEEvPT_S4_i.has_recursion, 0
	.set _Z17testOperationsGPUI15HIP_vector_typeIiLj4EES0_IiLj1EEEvPT_S4_i.has_indirect_call, 0
	.section	.AMDGPU.csdata,"",@progbits
; Kernel info:
; codeLenInByte = 404
; TotalNumSgprs: 10
; NumVgprs: 11
; ScratchSize: 0
; MemoryBound: 0
; FloatMode: 240
; IeeeMode: 1
; LDSByteSize: 0 bytes/workgroup (compile time only)
; SGPRBlocks: 1
; VGPRBlocks: 2
; NumSGPRsForWavesPerEU: 10
; NumVGPRsForWavesPerEU: 11
; Occupancy: 10
; WaveLimiterHint : 0
; COMPUTE_PGM_RSRC2:SCRATCH_EN: 0
; COMPUTE_PGM_RSRC2:USER_SGPR: 6
; COMPUTE_PGM_RSRC2:TRAP_HANDLER: 0
; COMPUTE_PGM_RSRC2:TGID_X_EN: 1
; COMPUTE_PGM_RSRC2:TGID_Y_EN: 0
; COMPUTE_PGM_RSRC2:TGID_Z_EN: 0
; COMPUTE_PGM_RSRC2:TIDIG_COMP_CNT: 0
	.section	.text._Z17testOperationsGPUI15HIP_vector_typeIcLj1EES1_EvPT_S3_i,"axG",@progbits,_Z17testOperationsGPUI15HIP_vector_typeIcLj1EES1_EvPT_S3_i,comdat
	.protected	_Z17testOperationsGPUI15HIP_vector_typeIcLj1EES1_EvPT_S3_i ; -- Begin function _Z17testOperationsGPUI15HIP_vector_typeIcLj1EES1_EvPT_S3_i
	.globl	_Z17testOperationsGPUI15HIP_vector_typeIcLj1EES1_EvPT_S3_i
	.p2align	8
	.type	_Z17testOperationsGPUI15HIP_vector_typeIcLj1EES1_EvPT_S3_i,@function
_Z17testOperationsGPUI15HIP_vector_typeIcLj1EES1_EvPT_S3_i: ; @_Z17testOperationsGPUI15HIP_vector_typeIcLj1EES1_EvPT_S3_i
; %bb.0:
	s_load_dword s0, s[4:5], 0x10
	s_waitcnt lgkmcnt(0)
	v_cmp_ge_i32_e32 vcc, s0, v0
	s_and_saveexec_b64 s[0:1], vcc
	s_cbranch_execz .LBB12_2
; %bb.1:
	s_load_dwordx4 s[0:3], s[4:5], 0x0
	s_waitcnt lgkmcnt(0)
	global_load_ubyte v1, v0, s[2:3]
	global_load_ubyte v2, v0, s[0:1]
	s_waitcnt vmcnt(0)
	v_add_u16_e32 v1, v1, v2
	v_add_u16_e32 v1, 1, v1
	global_store_byte v0, v1, s[0:1]
	global_load_ubyte v1, v0, s[2:3]
	s_waitcnt vmcnt(0)
	v_add_u16_e32 v1, 1, v1
	global_store_byte v0, v1, s[2:3]
.LBB12_2:
	s_endpgm
	.section	.rodata,"a",@progbits
	.p2align	6, 0x0
	.amdhsa_kernel _Z17testOperationsGPUI15HIP_vector_typeIcLj1EES1_EvPT_S3_i
		.amdhsa_group_segment_fixed_size 0
		.amdhsa_private_segment_fixed_size 0
		.amdhsa_kernarg_size 20
		.amdhsa_user_sgpr_count 6
		.amdhsa_user_sgpr_private_segment_buffer 1
		.amdhsa_user_sgpr_dispatch_ptr 0
		.amdhsa_user_sgpr_queue_ptr 0
		.amdhsa_user_sgpr_kernarg_segment_ptr 1
		.amdhsa_user_sgpr_dispatch_id 0
		.amdhsa_user_sgpr_flat_scratch_init 0
		.amdhsa_user_sgpr_private_segment_size 0
		.amdhsa_uses_dynamic_stack 0
		.amdhsa_system_sgpr_private_segment_wavefront_offset 0
		.amdhsa_system_sgpr_workgroup_id_x 1
		.amdhsa_system_sgpr_workgroup_id_y 0
		.amdhsa_system_sgpr_workgroup_id_z 0
		.amdhsa_system_sgpr_workgroup_info 0
		.amdhsa_system_vgpr_workitem_id 0
		.amdhsa_next_free_vgpr 3
		.amdhsa_next_free_sgpr 6
		.amdhsa_reserve_vcc 1
		.amdhsa_reserve_flat_scratch 0
		.amdhsa_float_round_mode_32 0
		.amdhsa_float_round_mode_16_64 0
		.amdhsa_float_denorm_mode_32 3
		.amdhsa_float_denorm_mode_16_64 3
		.amdhsa_dx10_clamp 1
		.amdhsa_ieee_mode 1
		.amdhsa_fp16_overflow 0
		.amdhsa_exception_fp_ieee_invalid_op 0
		.amdhsa_exception_fp_denorm_src 0
		.amdhsa_exception_fp_ieee_div_zero 0
		.amdhsa_exception_fp_ieee_overflow 0
		.amdhsa_exception_fp_ieee_underflow 0
		.amdhsa_exception_fp_ieee_inexact 0
		.amdhsa_exception_int_div_zero 0
	.end_amdhsa_kernel
	.section	.text._Z17testOperationsGPUI15HIP_vector_typeIcLj1EES1_EvPT_S3_i,"axG",@progbits,_Z17testOperationsGPUI15HIP_vector_typeIcLj1EES1_EvPT_S3_i,comdat
.Lfunc_end12:
	.size	_Z17testOperationsGPUI15HIP_vector_typeIcLj1EES1_EvPT_S3_i, .Lfunc_end12-_Z17testOperationsGPUI15HIP_vector_typeIcLj1EES1_EvPT_S3_i
                                        ; -- End function
	.set _Z17testOperationsGPUI15HIP_vector_typeIcLj1EES1_EvPT_S3_i.num_vgpr, 3
	.set _Z17testOperationsGPUI15HIP_vector_typeIcLj1EES1_EvPT_S3_i.num_agpr, 0
	.set _Z17testOperationsGPUI15HIP_vector_typeIcLj1EES1_EvPT_S3_i.numbered_sgpr, 6
	.set _Z17testOperationsGPUI15HIP_vector_typeIcLj1EES1_EvPT_S3_i.num_named_barrier, 0
	.set _Z17testOperationsGPUI15HIP_vector_typeIcLj1EES1_EvPT_S3_i.private_seg_size, 0
	.set _Z17testOperationsGPUI15HIP_vector_typeIcLj1EES1_EvPT_S3_i.uses_vcc, 1
	.set _Z17testOperationsGPUI15HIP_vector_typeIcLj1EES1_EvPT_S3_i.uses_flat_scratch, 0
	.set _Z17testOperationsGPUI15HIP_vector_typeIcLj1EES1_EvPT_S3_i.has_dyn_sized_stack, 0
	.set _Z17testOperationsGPUI15HIP_vector_typeIcLj1EES1_EvPT_S3_i.has_recursion, 0
	.set _Z17testOperationsGPUI15HIP_vector_typeIcLj1EES1_EvPT_S3_i.has_indirect_call, 0
	.section	.AMDGPU.csdata,"",@progbits
; Kernel info:
; codeLenInByte = 100
; TotalNumSgprs: 10
; NumVgprs: 3
; ScratchSize: 0
; MemoryBound: 0
; FloatMode: 240
; IeeeMode: 1
; LDSByteSize: 0 bytes/workgroup (compile time only)
; SGPRBlocks: 1
; VGPRBlocks: 0
; NumSGPRsForWavesPerEU: 10
; NumVGPRsForWavesPerEU: 3
; Occupancy: 10
; WaveLimiterHint : 0
; COMPUTE_PGM_RSRC2:SCRATCH_EN: 0
; COMPUTE_PGM_RSRC2:USER_SGPR: 6
; COMPUTE_PGM_RSRC2:TRAP_HANDLER: 0
; COMPUTE_PGM_RSRC2:TGID_X_EN: 1
; COMPUTE_PGM_RSRC2:TGID_Y_EN: 0
; COMPUTE_PGM_RSRC2:TGID_Z_EN: 0
; COMPUTE_PGM_RSRC2:TIDIG_COMP_CNT: 0
	.section	.text._Z17testOperationsGPUI15HIP_vector_typeIcLj2EES0_IcLj1EEEvPT_S4_i,"axG",@progbits,_Z17testOperationsGPUI15HIP_vector_typeIcLj2EES0_IcLj1EEEvPT_S4_i,comdat
	.protected	_Z17testOperationsGPUI15HIP_vector_typeIcLj2EES0_IcLj1EEEvPT_S4_i ; -- Begin function _Z17testOperationsGPUI15HIP_vector_typeIcLj2EES0_IcLj1EEEvPT_S4_i
	.globl	_Z17testOperationsGPUI15HIP_vector_typeIcLj2EES0_IcLj1EEEvPT_S4_i
	.p2align	8
	.type	_Z17testOperationsGPUI15HIP_vector_typeIcLj2EES0_IcLj1EEEvPT_S4_i,@function
_Z17testOperationsGPUI15HIP_vector_typeIcLj2EES0_IcLj1EEEvPT_S4_i: ; @_Z17testOperationsGPUI15HIP_vector_typeIcLj2EES0_IcLj1EEEvPT_S4_i
; %bb.0:
	s_load_dword s0, s[4:5], 0x10
	s_waitcnt lgkmcnt(0)
	v_cmp_ge_i32_e32 vcc, s0, v0
	s_and_saveexec_b64 s[0:1], vcc
	s_cbranch_execz .LBB13_2
; %bb.1:
	s_load_dwordx4 s[0:3], s[4:5], 0x0
	v_lshlrev_b32_e32 v0, 1, v0
	s_waitcnt lgkmcnt(0)
	global_load_ubyte v1, v0, s[2:3]
	global_load_ubyte v2, v0, s[0:1]
	s_waitcnt vmcnt(0)
	v_add_u16_e32 v1, v1, v2
	v_add_u16_e32 v1, 1, v1
	global_store_byte v0, v1, s[0:1]
	global_load_ubyte v1, v0, s[2:3]
	s_waitcnt vmcnt(0)
	v_add_u16_e32 v1, 1, v1
	global_store_byte v0, v1, s[0:1] offset:1
	global_load_ubyte v2, v0, s[2:3] offset:1
	s_nop 0
	global_store_byte v0, v1, s[2:3]
	s_waitcnt vmcnt(1)
	global_store_byte v0, v2, s[0:1]
.LBB13_2:
	s_endpgm
	.section	.rodata,"a",@progbits
	.p2align	6, 0x0
	.amdhsa_kernel _Z17testOperationsGPUI15HIP_vector_typeIcLj2EES0_IcLj1EEEvPT_S4_i
		.amdhsa_group_segment_fixed_size 0
		.amdhsa_private_segment_fixed_size 0
		.amdhsa_kernarg_size 20
		.amdhsa_user_sgpr_count 6
		.amdhsa_user_sgpr_private_segment_buffer 1
		.amdhsa_user_sgpr_dispatch_ptr 0
		.amdhsa_user_sgpr_queue_ptr 0
		.amdhsa_user_sgpr_kernarg_segment_ptr 1
		.amdhsa_user_sgpr_dispatch_id 0
		.amdhsa_user_sgpr_flat_scratch_init 0
		.amdhsa_user_sgpr_private_segment_size 0
		.amdhsa_uses_dynamic_stack 0
		.amdhsa_system_sgpr_private_segment_wavefront_offset 0
		.amdhsa_system_sgpr_workgroup_id_x 1
		.amdhsa_system_sgpr_workgroup_id_y 0
		.amdhsa_system_sgpr_workgroup_id_z 0
		.amdhsa_system_sgpr_workgroup_info 0
		.amdhsa_system_vgpr_workitem_id 0
		.amdhsa_next_free_vgpr 3
		.amdhsa_next_free_sgpr 6
		.amdhsa_reserve_vcc 1
		.amdhsa_reserve_flat_scratch 0
		.amdhsa_float_round_mode_32 0
		.amdhsa_float_round_mode_16_64 0
		.amdhsa_float_denorm_mode_32 3
		.amdhsa_float_denorm_mode_16_64 3
		.amdhsa_dx10_clamp 1
		.amdhsa_ieee_mode 1
		.amdhsa_fp16_overflow 0
		.amdhsa_exception_fp_ieee_invalid_op 0
		.amdhsa_exception_fp_denorm_src 0
		.amdhsa_exception_fp_ieee_div_zero 0
		.amdhsa_exception_fp_ieee_overflow 0
		.amdhsa_exception_fp_ieee_underflow 0
		.amdhsa_exception_fp_ieee_inexact 0
		.amdhsa_exception_int_div_zero 0
	.end_amdhsa_kernel
	.section	.text._Z17testOperationsGPUI15HIP_vector_typeIcLj2EES0_IcLj1EEEvPT_S4_i,"axG",@progbits,_Z17testOperationsGPUI15HIP_vector_typeIcLj2EES0_IcLj1EEEvPT_S4_i,comdat
.Lfunc_end13:
	.size	_Z17testOperationsGPUI15HIP_vector_typeIcLj2EES0_IcLj1EEEvPT_S4_i, .Lfunc_end13-_Z17testOperationsGPUI15HIP_vector_typeIcLj2EES0_IcLj1EEEvPT_S4_i
                                        ; -- End function
	.set _Z17testOperationsGPUI15HIP_vector_typeIcLj2EES0_IcLj1EEEvPT_S4_i.num_vgpr, 3
	.set _Z17testOperationsGPUI15HIP_vector_typeIcLj2EES0_IcLj1EEEvPT_S4_i.num_agpr, 0
	.set _Z17testOperationsGPUI15HIP_vector_typeIcLj2EES0_IcLj1EEEvPT_S4_i.numbered_sgpr, 6
	.set _Z17testOperationsGPUI15HIP_vector_typeIcLj2EES0_IcLj1EEEvPT_S4_i.num_named_barrier, 0
	.set _Z17testOperationsGPUI15HIP_vector_typeIcLj2EES0_IcLj1EEEvPT_S4_i.private_seg_size, 0
	.set _Z17testOperationsGPUI15HIP_vector_typeIcLj2EES0_IcLj1EEEvPT_S4_i.uses_vcc, 1
	.set _Z17testOperationsGPUI15HIP_vector_typeIcLj2EES0_IcLj1EEEvPT_S4_i.uses_flat_scratch, 0
	.set _Z17testOperationsGPUI15HIP_vector_typeIcLj2EES0_IcLj1EEEvPT_S4_i.has_dyn_sized_stack, 0
	.set _Z17testOperationsGPUI15HIP_vector_typeIcLj2EES0_IcLj1EEEvPT_S4_i.has_recursion, 0
	.set _Z17testOperationsGPUI15HIP_vector_typeIcLj2EES0_IcLj1EEEvPT_S4_i.has_indirect_call, 0
	.section	.AMDGPU.csdata,"",@progbits
; Kernel info:
; codeLenInByte = 136
; TotalNumSgprs: 10
; NumVgprs: 3
; ScratchSize: 0
; MemoryBound: 0
; FloatMode: 240
; IeeeMode: 1
; LDSByteSize: 0 bytes/workgroup (compile time only)
; SGPRBlocks: 1
; VGPRBlocks: 0
; NumSGPRsForWavesPerEU: 10
; NumVGPRsForWavesPerEU: 3
; Occupancy: 10
; WaveLimiterHint : 0
; COMPUTE_PGM_RSRC2:SCRATCH_EN: 0
; COMPUTE_PGM_RSRC2:USER_SGPR: 6
; COMPUTE_PGM_RSRC2:TRAP_HANDLER: 0
; COMPUTE_PGM_RSRC2:TGID_X_EN: 1
; COMPUTE_PGM_RSRC2:TGID_Y_EN: 0
; COMPUTE_PGM_RSRC2:TGID_Z_EN: 0
; COMPUTE_PGM_RSRC2:TIDIG_COMP_CNT: 0
	.section	.text._Z17testOperationsGPUI15HIP_vector_typeIcLj3EES0_IcLj1EEEvPT_S4_i,"axG",@progbits,_Z17testOperationsGPUI15HIP_vector_typeIcLj3EES0_IcLj1EEEvPT_S4_i,comdat
	.protected	_Z17testOperationsGPUI15HIP_vector_typeIcLj3EES0_IcLj1EEEvPT_S4_i ; -- Begin function _Z17testOperationsGPUI15HIP_vector_typeIcLj3EES0_IcLj1EEEvPT_S4_i
	.globl	_Z17testOperationsGPUI15HIP_vector_typeIcLj3EES0_IcLj1EEEvPT_S4_i
	.p2align	8
	.type	_Z17testOperationsGPUI15HIP_vector_typeIcLj3EES0_IcLj1EEEvPT_S4_i,@function
_Z17testOperationsGPUI15HIP_vector_typeIcLj3EES0_IcLj1EEEvPT_S4_i: ; @_Z17testOperationsGPUI15HIP_vector_typeIcLj3EES0_IcLj1EEEvPT_S4_i
; %bb.0:
	s_load_dword s0, s[4:5], 0x10
	s_waitcnt lgkmcnt(0)
	v_cmp_ge_i32_e32 vcc, s0, v0
	s_and_saveexec_b64 s[0:1], vcc
	s_cbranch_execz .LBB14_4
; %bb.1:
	s_load_dwordx4 s[0:3], s[4:5], 0x0
	s_waitcnt lgkmcnt(0)
	v_mov_b32_e32 v1, s2
	v_mov_b32_e32 v2, s3
	;; [unrolled: 1-line block ×4, first 2 shown]
	v_mad_u64_u32 v[2:3], s[0:1], v0, 3, v[1:2]
	v_mad_u64_u32 v[0:1], s[0:1], v0, 3, v[4:5]
	global_load_ubyte v4, v[2:3], off
	global_load_ubyte v5, v[0:1], off
	s_waitcnt vmcnt(0)
	v_add_u16_e32 v4, v4, v5
	v_add_u16_e32 v4, 1, v4
	global_store_byte v[0:1], v4, off
	global_load_ubyte v4, v[2:3], off
	s_waitcnt vmcnt(0)
	v_add_u16_e32 v6, 1, v4
	global_store_byte v[0:1], v6, off offset:1
	global_load_sbyte v5, v[2:3], off offset:1
	s_nop 0
	global_store_byte v[2:3], v6, off
	s_waitcnt vmcnt(1)
	global_store_byte v[0:1], v5, off
	v_cmp_lt_i16_e32 vcc, 0, v5
	s_and_saveexec_b64 s[0:1], vcc
	s_cbranch_execz .LBB14_3
; %bb.2:
	global_load_sbyte v6, v[2:3], off
	v_cvt_f32_i32_sdwa v7, sext(v5) dst_sel:DWORD dst_unused:UNUSED_PAD src0_sel:WORD_0
	v_rcp_iflag_f32_e32 v9, v7
	s_waitcnt vmcnt(0)
	v_cvt_f32_i32_e32 v8, v6
	v_xor_b32_sdwa v5, v6, sext(v5) dst_sel:DWORD dst_unused:UNUSED_PAD src0_sel:DWORD src1_sel:WORD_0
	v_ashrrev_i32_e32 v5, 30, v5
	v_or_b32_e32 v5, 1, v5
	v_mul_f32_e32 v6, v8, v9
	v_trunc_f32_e32 v6, v6
	v_cvt_i32_f32_e32 v9, v6
	v_mad_f32 v6, -v6, v7, v8
	v_cmp_ge_f32_e64 vcc, |v6|, |v7|
	v_cndmask_b32_e32 v5, 0, v5, vcc
	v_add_u32_e32 v5, v9, v5
	global_store_byte v[2:3], v5, off
	global_load_ubyte v5, v[0:1], off
.LBB14_3:
	s_or_b64 exec, exec, s[0:1]
	global_load_ubyte v2, v[2:3], off offset:2
	v_lshlrev_b16_e32 v3, 8, v4
	s_waitcnt vmcnt(0)
	v_mul_lo_u16_e32 v2, v2, v5
	v_or_b32_sdwa v2, v2, v3 dst_sel:DWORD dst_unused:UNUSED_PAD src0_sel:BYTE_0 src1_sel:DWORD
	global_store_short v[0:1], v2, off
.LBB14_4:
	s_endpgm
	.section	.rodata,"a",@progbits
	.p2align	6, 0x0
	.amdhsa_kernel _Z17testOperationsGPUI15HIP_vector_typeIcLj3EES0_IcLj1EEEvPT_S4_i
		.amdhsa_group_segment_fixed_size 0
		.amdhsa_private_segment_fixed_size 0
		.amdhsa_kernarg_size 20
		.amdhsa_user_sgpr_count 6
		.amdhsa_user_sgpr_private_segment_buffer 1
		.amdhsa_user_sgpr_dispatch_ptr 0
		.amdhsa_user_sgpr_queue_ptr 0
		.amdhsa_user_sgpr_kernarg_segment_ptr 1
		.amdhsa_user_sgpr_dispatch_id 0
		.amdhsa_user_sgpr_flat_scratch_init 0
		.amdhsa_user_sgpr_private_segment_size 0
		.amdhsa_uses_dynamic_stack 0
		.amdhsa_system_sgpr_private_segment_wavefront_offset 0
		.amdhsa_system_sgpr_workgroup_id_x 1
		.amdhsa_system_sgpr_workgroup_id_y 0
		.amdhsa_system_sgpr_workgroup_id_z 0
		.amdhsa_system_sgpr_workgroup_info 0
		.amdhsa_system_vgpr_workitem_id 0
		.amdhsa_next_free_vgpr 10
		.amdhsa_next_free_sgpr 6
		.amdhsa_reserve_vcc 1
		.amdhsa_reserve_flat_scratch 0
		.amdhsa_float_round_mode_32 0
		.amdhsa_float_round_mode_16_64 0
		.amdhsa_float_denorm_mode_32 3
		.amdhsa_float_denorm_mode_16_64 3
		.amdhsa_dx10_clamp 1
		.amdhsa_ieee_mode 1
		.amdhsa_fp16_overflow 0
		.amdhsa_exception_fp_ieee_invalid_op 0
		.amdhsa_exception_fp_denorm_src 0
		.amdhsa_exception_fp_ieee_div_zero 0
		.amdhsa_exception_fp_ieee_overflow 0
		.amdhsa_exception_fp_ieee_underflow 0
		.amdhsa_exception_fp_ieee_inexact 0
		.amdhsa_exception_int_div_zero 0
	.end_amdhsa_kernel
	.section	.text._Z17testOperationsGPUI15HIP_vector_typeIcLj3EES0_IcLj1EEEvPT_S4_i,"axG",@progbits,_Z17testOperationsGPUI15HIP_vector_typeIcLj3EES0_IcLj1EEEvPT_S4_i,comdat
.Lfunc_end14:
	.size	_Z17testOperationsGPUI15HIP_vector_typeIcLj3EES0_IcLj1EEEvPT_S4_i, .Lfunc_end14-_Z17testOperationsGPUI15HIP_vector_typeIcLj3EES0_IcLj1EEEvPT_S4_i
                                        ; -- End function
	.set _Z17testOperationsGPUI15HIP_vector_typeIcLj3EES0_IcLj1EEEvPT_S4_i.num_vgpr, 10
	.set _Z17testOperationsGPUI15HIP_vector_typeIcLj3EES0_IcLj1EEEvPT_S4_i.num_agpr, 0
	.set _Z17testOperationsGPUI15HIP_vector_typeIcLj3EES0_IcLj1EEEvPT_S4_i.numbered_sgpr, 6
	.set _Z17testOperationsGPUI15HIP_vector_typeIcLj3EES0_IcLj1EEEvPT_S4_i.num_named_barrier, 0
	.set _Z17testOperationsGPUI15HIP_vector_typeIcLj3EES0_IcLj1EEEvPT_S4_i.private_seg_size, 0
	.set _Z17testOperationsGPUI15HIP_vector_typeIcLj3EES0_IcLj1EEEvPT_S4_i.uses_vcc, 1
	.set _Z17testOperationsGPUI15HIP_vector_typeIcLj3EES0_IcLj1EEEvPT_S4_i.uses_flat_scratch, 0
	.set _Z17testOperationsGPUI15HIP_vector_typeIcLj3EES0_IcLj1EEEvPT_S4_i.has_dyn_sized_stack, 0
	.set _Z17testOperationsGPUI15HIP_vector_typeIcLj3EES0_IcLj1EEEvPT_S4_i.has_recursion, 0
	.set _Z17testOperationsGPUI15HIP_vector_typeIcLj3EES0_IcLj1EEEvPT_S4_i.has_indirect_call, 0
	.section	.AMDGPU.csdata,"",@progbits
; Kernel info:
; codeLenInByte = 312
; TotalNumSgprs: 10
; NumVgprs: 10
; ScratchSize: 0
; MemoryBound: 0
; FloatMode: 240
; IeeeMode: 1
; LDSByteSize: 0 bytes/workgroup (compile time only)
; SGPRBlocks: 1
; VGPRBlocks: 2
; NumSGPRsForWavesPerEU: 10
; NumVGPRsForWavesPerEU: 10
; Occupancy: 10
; WaveLimiterHint : 0
; COMPUTE_PGM_RSRC2:SCRATCH_EN: 0
; COMPUTE_PGM_RSRC2:USER_SGPR: 6
; COMPUTE_PGM_RSRC2:TRAP_HANDLER: 0
; COMPUTE_PGM_RSRC2:TGID_X_EN: 1
; COMPUTE_PGM_RSRC2:TGID_Y_EN: 0
; COMPUTE_PGM_RSRC2:TGID_Z_EN: 0
; COMPUTE_PGM_RSRC2:TIDIG_COMP_CNT: 0
	.section	.text._Z17testOperationsGPUI15HIP_vector_typeIcLj4EES0_IcLj1EEEvPT_S4_i,"axG",@progbits,_Z17testOperationsGPUI15HIP_vector_typeIcLj4EES0_IcLj1EEEvPT_S4_i,comdat
	.protected	_Z17testOperationsGPUI15HIP_vector_typeIcLj4EES0_IcLj1EEEvPT_S4_i ; -- Begin function _Z17testOperationsGPUI15HIP_vector_typeIcLj4EES0_IcLj1EEEvPT_S4_i
	.globl	_Z17testOperationsGPUI15HIP_vector_typeIcLj4EES0_IcLj1EEEvPT_S4_i
	.p2align	8
	.type	_Z17testOperationsGPUI15HIP_vector_typeIcLj4EES0_IcLj1EEEvPT_S4_i,@function
_Z17testOperationsGPUI15HIP_vector_typeIcLj4EES0_IcLj1EEEvPT_S4_i: ; @_Z17testOperationsGPUI15HIP_vector_typeIcLj4EES0_IcLj1EEEvPT_S4_i
; %bb.0:
	s_load_dword s0, s[4:5], 0x10
	s_waitcnt lgkmcnt(0)
	v_cmp_ge_i32_e32 vcc, s0, v0
	s_and_saveexec_b64 s[0:1], vcc
	s_cbranch_execz .LBB15_4
; %bb.1:
	s_load_dwordx4 s[0:3], s[4:5], 0x0
	v_lshlrev_b32_e32 v6, 2, v0
	s_waitcnt lgkmcnt(0)
	global_load_ubyte v0, v6, s[2:3]
	global_load_ubyte v1, v6, s[0:1]
	v_mov_b32_e32 v3, s3
	s_waitcnt vmcnt(0)
	v_add_u16_e32 v0, v0, v1
	v_add_u16_e32 v0, 1, v0
	global_store_byte v6, v0, s[0:1]
	global_load_ubyte v4, v6, s[2:3]
	v_mov_b32_e32 v1, s1
	v_add_co_u32_e32 v0, vcc, s0, v6
	v_addc_co_u32_e32 v1, vcc, 0, v1, vcc
	v_add_co_u32_e32 v2, vcc, s2, v6
	v_addc_co_u32_e32 v3, vcc, 0, v3, vcc
	s_waitcnt vmcnt(0)
	v_add_u16_e32 v7, 1, v4
	global_store_byte v6, v7, s[0:1] offset:1
	global_load_sbyte v5, v6, s[2:3] offset:1
	s_nop 0
	global_store_byte v6, v7, s[2:3]
	s_waitcnt vmcnt(1)
	global_store_byte v6, v5, s[0:1]
	v_cmp_lt_i16_e32 vcc, 0, v5
	s_and_saveexec_b64 s[0:1], vcc
	s_cbranch_execz .LBB15_3
; %bb.2:
	global_load_sbyte v6, v[2:3], off
	v_cvt_f32_i32_sdwa v7, sext(v5) dst_sel:DWORD dst_unused:UNUSED_PAD src0_sel:WORD_0
	v_rcp_iflag_f32_e32 v9, v7
	s_waitcnt vmcnt(0)
	v_cvt_f32_i32_e32 v8, v6
	v_xor_b32_sdwa v5, v6, sext(v5) dst_sel:DWORD dst_unused:UNUSED_PAD src0_sel:DWORD src1_sel:WORD_0
	v_ashrrev_i32_e32 v5, 30, v5
	v_or_b32_e32 v5, 1, v5
	v_mul_f32_e32 v6, v8, v9
	v_trunc_f32_e32 v6, v6
	v_cvt_i32_f32_e32 v9, v6
	v_mad_f32 v6, -v6, v7, v8
	v_cmp_ge_f32_e64 vcc, |v6|, |v7|
	v_cndmask_b32_e32 v5, 0, v5, vcc
	v_add_u32_e32 v5, v9, v5
	global_store_byte v[2:3], v5, off
	global_load_ubyte v5, v[0:1], off
.LBB15_3:
	s_or_b64 exec, exec, s[0:1]
	global_load_ubyte v6, v[2:3], off offset:2
	v_lshlrev_b16_e32 v4, 8, v4
	s_waitcnt vmcnt(0)
	v_mul_lo_u16_e32 v5, v6, v5
	v_or_b32_sdwa v4, v5, v4 dst_sel:DWORD dst_unused:UNUSED_PAD src0_sel:BYTE_0 src1_sel:DWORD
	global_store_short v[0:1], v4, off
	global_store_byte v[2:3], v5, off offset:3
	global_load_ubyte v4, v[2:3], off offset:1
	s_nop 0
	global_load_ubyte v5, v[0:1], off offset:3
	s_waitcnt vmcnt(0)
	v_sub_u16_e32 v2, v5, v4
	global_store_byte v[0:1], v2, off offset:3
.LBB15_4:
	s_endpgm
	.section	.rodata,"a",@progbits
	.p2align	6, 0x0
	.amdhsa_kernel _Z17testOperationsGPUI15HIP_vector_typeIcLj4EES0_IcLj1EEEvPT_S4_i
		.amdhsa_group_segment_fixed_size 0
		.amdhsa_private_segment_fixed_size 0
		.amdhsa_kernarg_size 20
		.amdhsa_user_sgpr_count 6
		.amdhsa_user_sgpr_private_segment_buffer 1
		.amdhsa_user_sgpr_dispatch_ptr 0
		.amdhsa_user_sgpr_queue_ptr 0
		.amdhsa_user_sgpr_kernarg_segment_ptr 1
		.amdhsa_user_sgpr_dispatch_id 0
		.amdhsa_user_sgpr_flat_scratch_init 0
		.amdhsa_user_sgpr_private_segment_size 0
		.amdhsa_uses_dynamic_stack 0
		.amdhsa_system_sgpr_private_segment_wavefront_offset 0
		.amdhsa_system_sgpr_workgroup_id_x 1
		.amdhsa_system_sgpr_workgroup_id_y 0
		.amdhsa_system_sgpr_workgroup_id_z 0
		.amdhsa_system_sgpr_workgroup_info 0
		.amdhsa_system_vgpr_workitem_id 0
		.amdhsa_next_free_vgpr 10
		.amdhsa_next_free_sgpr 6
		.amdhsa_reserve_vcc 1
		.amdhsa_reserve_flat_scratch 0
		.amdhsa_float_round_mode_32 0
		.amdhsa_float_round_mode_16_64 0
		.amdhsa_float_denorm_mode_32 3
		.amdhsa_float_denorm_mode_16_64 3
		.amdhsa_dx10_clamp 1
		.amdhsa_ieee_mode 1
		.amdhsa_fp16_overflow 0
		.amdhsa_exception_fp_ieee_invalid_op 0
		.amdhsa_exception_fp_denorm_src 0
		.amdhsa_exception_fp_ieee_div_zero 0
		.amdhsa_exception_fp_ieee_overflow 0
		.amdhsa_exception_fp_ieee_underflow 0
		.amdhsa_exception_fp_ieee_inexact 0
		.amdhsa_exception_int_div_zero 0
	.end_amdhsa_kernel
	.section	.text._Z17testOperationsGPUI15HIP_vector_typeIcLj4EES0_IcLj1EEEvPT_S4_i,"axG",@progbits,_Z17testOperationsGPUI15HIP_vector_typeIcLj4EES0_IcLj1EEEvPT_S4_i,comdat
.Lfunc_end15:
	.size	_Z17testOperationsGPUI15HIP_vector_typeIcLj4EES0_IcLj1EEEvPT_S4_i, .Lfunc_end15-_Z17testOperationsGPUI15HIP_vector_typeIcLj4EES0_IcLj1EEEvPT_S4_i
                                        ; -- End function
	.set _Z17testOperationsGPUI15HIP_vector_typeIcLj4EES0_IcLj1EEEvPT_S4_i.num_vgpr, 10
	.set _Z17testOperationsGPUI15HIP_vector_typeIcLj4EES0_IcLj1EEEvPT_S4_i.num_agpr, 0
	.set _Z17testOperationsGPUI15HIP_vector_typeIcLj4EES0_IcLj1EEEvPT_S4_i.numbered_sgpr, 6
	.set _Z17testOperationsGPUI15HIP_vector_typeIcLj4EES0_IcLj1EEEvPT_S4_i.num_named_barrier, 0
	.set _Z17testOperationsGPUI15HIP_vector_typeIcLj4EES0_IcLj1EEEvPT_S4_i.private_seg_size, 0
	.set _Z17testOperationsGPUI15HIP_vector_typeIcLj4EES0_IcLj1EEEvPT_S4_i.uses_vcc, 1
	.set _Z17testOperationsGPUI15HIP_vector_typeIcLj4EES0_IcLj1EEEvPT_S4_i.uses_flat_scratch, 0
	.set _Z17testOperationsGPUI15HIP_vector_typeIcLj4EES0_IcLj1EEEvPT_S4_i.has_dyn_sized_stack, 0
	.set _Z17testOperationsGPUI15HIP_vector_typeIcLj4EES0_IcLj1EEEvPT_S4_i.has_recursion, 0
	.set _Z17testOperationsGPUI15HIP_vector_typeIcLj4EES0_IcLj1EEEvPT_S4_i.has_indirect_call, 0
	.section	.AMDGPU.csdata,"",@progbits
; Kernel info:
; codeLenInByte = 352
; TotalNumSgprs: 10
; NumVgprs: 10
; ScratchSize: 0
; MemoryBound: 0
; FloatMode: 240
; IeeeMode: 1
; LDSByteSize: 0 bytes/workgroup (compile time only)
; SGPRBlocks: 1
; VGPRBlocks: 2
; NumSGPRsForWavesPerEU: 10
; NumVGPRsForWavesPerEU: 10
; Occupancy: 10
; WaveLimiterHint : 0
; COMPUTE_PGM_RSRC2:SCRATCH_EN: 0
; COMPUTE_PGM_RSRC2:USER_SGPR: 6
; COMPUTE_PGM_RSRC2:TRAP_HANDLER: 0
; COMPUTE_PGM_RSRC2:TGID_X_EN: 1
; COMPUTE_PGM_RSRC2:TGID_Y_EN: 0
; COMPUTE_PGM_RSRC2:TGID_Z_EN: 0
; COMPUTE_PGM_RSRC2:TIDIG_COMP_CNT: 0
	.section	.text._Z17testOperationsGPUI15HIP_vector_typeIlLj1EES1_EvPT_S3_i,"axG",@progbits,_Z17testOperationsGPUI15HIP_vector_typeIlLj1EES1_EvPT_S3_i,comdat
	.protected	_Z17testOperationsGPUI15HIP_vector_typeIlLj1EES1_EvPT_S3_i ; -- Begin function _Z17testOperationsGPUI15HIP_vector_typeIlLj1EES1_EvPT_S3_i
	.globl	_Z17testOperationsGPUI15HIP_vector_typeIlLj1EES1_EvPT_S3_i
	.p2align	8
	.type	_Z17testOperationsGPUI15HIP_vector_typeIlLj1EES1_EvPT_S3_i,@function
_Z17testOperationsGPUI15HIP_vector_typeIlLj1EES1_EvPT_S3_i: ; @_Z17testOperationsGPUI15HIP_vector_typeIlLj1EES1_EvPT_S3_i
; %bb.0:
	s_load_dword s0, s[4:5], 0x10
	s_waitcnt lgkmcnt(0)
	v_cmp_ge_i32_e32 vcc, s0, v0
	s_and_saveexec_b64 s[0:1], vcc
	s_cbranch_execz .LBB16_2
; %bb.1:
	s_load_dwordx4 s[0:3], s[4:5], 0x0
	v_lshlrev_b32_e32 v4, 3, v0
	s_waitcnt lgkmcnt(0)
	global_load_dwordx2 v[0:1], v4, s[2:3]
	global_load_dwordx2 v[2:3], v4, s[0:1]
	s_waitcnt vmcnt(0)
	v_add_co_u32_e32 v0, vcc, v0, v2
	v_addc_co_u32_e32 v1, vcc, v1, v3, vcc
	v_add_co_u32_e32 v0, vcc, 1, v0
	v_addc_co_u32_e32 v1, vcc, 0, v1, vcc
	global_store_dwordx2 v4, v[0:1], s[0:1]
	global_load_dwordx2 v[0:1], v4, s[2:3]
	s_waitcnt vmcnt(0)
	v_add_co_u32_e32 v0, vcc, 1, v0
	v_addc_co_u32_e32 v1, vcc, 0, v1, vcc
	global_store_dwordx2 v4, v[0:1], s[2:3]
.LBB16_2:
	s_endpgm
	.section	.rodata,"a",@progbits
	.p2align	6, 0x0
	.amdhsa_kernel _Z17testOperationsGPUI15HIP_vector_typeIlLj1EES1_EvPT_S3_i
		.amdhsa_group_segment_fixed_size 0
		.amdhsa_private_segment_fixed_size 0
		.amdhsa_kernarg_size 20
		.amdhsa_user_sgpr_count 6
		.amdhsa_user_sgpr_private_segment_buffer 1
		.amdhsa_user_sgpr_dispatch_ptr 0
		.amdhsa_user_sgpr_queue_ptr 0
		.amdhsa_user_sgpr_kernarg_segment_ptr 1
		.amdhsa_user_sgpr_dispatch_id 0
		.amdhsa_user_sgpr_flat_scratch_init 0
		.amdhsa_user_sgpr_private_segment_size 0
		.amdhsa_uses_dynamic_stack 0
		.amdhsa_system_sgpr_private_segment_wavefront_offset 0
		.amdhsa_system_sgpr_workgroup_id_x 1
		.amdhsa_system_sgpr_workgroup_id_y 0
		.amdhsa_system_sgpr_workgroup_id_z 0
		.amdhsa_system_sgpr_workgroup_info 0
		.amdhsa_system_vgpr_workitem_id 0
		.amdhsa_next_free_vgpr 5
		.amdhsa_next_free_sgpr 6
		.amdhsa_reserve_vcc 1
		.amdhsa_reserve_flat_scratch 0
		.amdhsa_float_round_mode_32 0
		.amdhsa_float_round_mode_16_64 0
		.amdhsa_float_denorm_mode_32 3
		.amdhsa_float_denorm_mode_16_64 3
		.amdhsa_dx10_clamp 1
		.amdhsa_ieee_mode 1
		.amdhsa_fp16_overflow 0
		.amdhsa_exception_fp_ieee_invalid_op 0
		.amdhsa_exception_fp_denorm_src 0
		.amdhsa_exception_fp_ieee_div_zero 0
		.amdhsa_exception_fp_ieee_overflow 0
		.amdhsa_exception_fp_ieee_underflow 0
		.amdhsa_exception_fp_ieee_inexact 0
		.amdhsa_exception_int_div_zero 0
	.end_amdhsa_kernel
	.section	.text._Z17testOperationsGPUI15HIP_vector_typeIlLj1EES1_EvPT_S3_i,"axG",@progbits,_Z17testOperationsGPUI15HIP_vector_typeIlLj1EES1_EvPT_S3_i,comdat
.Lfunc_end16:
	.size	_Z17testOperationsGPUI15HIP_vector_typeIlLj1EES1_EvPT_S3_i, .Lfunc_end16-_Z17testOperationsGPUI15HIP_vector_typeIlLj1EES1_EvPT_S3_i
                                        ; -- End function
	.set _Z17testOperationsGPUI15HIP_vector_typeIlLj1EES1_EvPT_S3_i.num_vgpr, 5
	.set _Z17testOperationsGPUI15HIP_vector_typeIlLj1EES1_EvPT_S3_i.num_agpr, 0
	.set _Z17testOperationsGPUI15HIP_vector_typeIlLj1EES1_EvPT_S3_i.numbered_sgpr, 6
	.set _Z17testOperationsGPUI15HIP_vector_typeIlLj1EES1_EvPT_S3_i.num_named_barrier, 0
	.set _Z17testOperationsGPUI15HIP_vector_typeIlLj1EES1_EvPT_S3_i.private_seg_size, 0
	.set _Z17testOperationsGPUI15HIP_vector_typeIlLj1EES1_EvPT_S3_i.uses_vcc, 1
	.set _Z17testOperationsGPUI15HIP_vector_typeIlLj1EES1_EvPT_S3_i.uses_flat_scratch, 0
	.set _Z17testOperationsGPUI15HIP_vector_typeIlLj1EES1_EvPT_S3_i.has_dyn_sized_stack, 0
	.set _Z17testOperationsGPUI15HIP_vector_typeIlLj1EES1_EvPT_S3_i.has_recursion, 0
	.set _Z17testOperationsGPUI15HIP_vector_typeIlLj1EES1_EvPT_S3_i.has_indirect_call, 0
	.section	.AMDGPU.csdata,"",@progbits
; Kernel info:
; codeLenInByte = 116
; TotalNumSgprs: 10
; NumVgprs: 5
; ScratchSize: 0
; MemoryBound: 0
; FloatMode: 240
; IeeeMode: 1
; LDSByteSize: 0 bytes/workgroup (compile time only)
; SGPRBlocks: 1
; VGPRBlocks: 1
; NumSGPRsForWavesPerEU: 10
; NumVGPRsForWavesPerEU: 5
; Occupancy: 10
; WaveLimiterHint : 0
; COMPUTE_PGM_RSRC2:SCRATCH_EN: 0
; COMPUTE_PGM_RSRC2:USER_SGPR: 6
; COMPUTE_PGM_RSRC2:TRAP_HANDLER: 0
; COMPUTE_PGM_RSRC2:TGID_X_EN: 1
; COMPUTE_PGM_RSRC2:TGID_Y_EN: 0
; COMPUTE_PGM_RSRC2:TGID_Z_EN: 0
; COMPUTE_PGM_RSRC2:TIDIG_COMP_CNT: 0
	.section	.text._Z17testOperationsGPUI15HIP_vector_typeIlLj2EES0_IlLj1EEEvPT_S4_i,"axG",@progbits,_Z17testOperationsGPUI15HIP_vector_typeIlLj2EES0_IlLj1EEEvPT_S4_i,comdat
	.protected	_Z17testOperationsGPUI15HIP_vector_typeIlLj2EES0_IlLj1EEEvPT_S4_i ; -- Begin function _Z17testOperationsGPUI15HIP_vector_typeIlLj2EES0_IlLj1EEEvPT_S4_i
	.globl	_Z17testOperationsGPUI15HIP_vector_typeIlLj2EES0_IlLj1EEEvPT_S4_i
	.p2align	8
	.type	_Z17testOperationsGPUI15HIP_vector_typeIlLj2EES0_IlLj1EEEvPT_S4_i,@function
_Z17testOperationsGPUI15HIP_vector_typeIlLj2EES0_IlLj1EEEvPT_S4_i: ; @_Z17testOperationsGPUI15HIP_vector_typeIlLj2EES0_IlLj1EEEvPT_S4_i
; %bb.0:
	s_load_dword s0, s[4:5], 0x10
	s_waitcnt lgkmcnt(0)
	v_cmp_ge_i32_e32 vcc, s0, v0
	s_and_saveexec_b64 s[0:1], vcc
	s_cbranch_execz .LBB17_2
; %bb.1:
	s_load_dwordx4 s[0:3], s[4:5], 0x0
	v_lshlrev_b32_e32 v4, 4, v0
	s_waitcnt lgkmcnt(0)
	global_load_dwordx2 v[0:1], v4, s[2:3]
	global_load_dwordx2 v[2:3], v4, s[0:1]
	s_waitcnt vmcnt(0)
	v_add_co_u32_e32 v0, vcc, v0, v2
	v_addc_co_u32_e32 v1, vcc, v1, v3, vcc
	v_add_co_u32_e32 v0, vcc, 1, v0
	v_addc_co_u32_e32 v1, vcc, 0, v1, vcc
	global_store_dwordx2 v4, v[0:1], s[0:1]
	global_load_dwordx2 v[0:1], v4, s[2:3]
	s_waitcnt vmcnt(0)
	v_add_co_u32_e32 v0, vcc, 1, v0
	v_addc_co_u32_e32 v1, vcc, 0, v1, vcc
	global_store_dwordx2 v4, v[0:1], s[0:1] offset:8
	global_load_dwordx2 v[2:3], v4, s[2:3] offset:8
	s_nop 0
	global_store_dwordx2 v4, v[0:1], s[2:3]
	s_waitcnt vmcnt(1)
	global_store_dwordx2 v4, v[2:3], s[0:1]
.LBB17_2:
	s_endpgm
	.section	.rodata,"a",@progbits
	.p2align	6, 0x0
	.amdhsa_kernel _Z17testOperationsGPUI15HIP_vector_typeIlLj2EES0_IlLj1EEEvPT_S4_i
		.amdhsa_group_segment_fixed_size 0
		.amdhsa_private_segment_fixed_size 0
		.amdhsa_kernarg_size 20
		.amdhsa_user_sgpr_count 6
		.amdhsa_user_sgpr_private_segment_buffer 1
		.amdhsa_user_sgpr_dispatch_ptr 0
		.amdhsa_user_sgpr_queue_ptr 0
		.amdhsa_user_sgpr_kernarg_segment_ptr 1
		.amdhsa_user_sgpr_dispatch_id 0
		.amdhsa_user_sgpr_flat_scratch_init 0
		.amdhsa_user_sgpr_private_segment_size 0
		.amdhsa_uses_dynamic_stack 0
		.amdhsa_system_sgpr_private_segment_wavefront_offset 0
		.amdhsa_system_sgpr_workgroup_id_x 1
		.amdhsa_system_sgpr_workgroup_id_y 0
		.amdhsa_system_sgpr_workgroup_id_z 0
		.amdhsa_system_sgpr_workgroup_info 0
		.amdhsa_system_vgpr_workitem_id 0
		.amdhsa_next_free_vgpr 5
		.amdhsa_next_free_sgpr 6
		.amdhsa_reserve_vcc 1
		.amdhsa_reserve_flat_scratch 0
		.amdhsa_float_round_mode_32 0
		.amdhsa_float_round_mode_16_64 0
		.amdhsa_float_denorm_mode_32 3
		.amdhsa_float_denorm_mode_16_64 3
		.amdhsa_dx10_clamp 1
		.amdhsa_ieee_mode 1
		.amdhsa_fp16_overflow 0
		.amdhsa_exception_fp_ieee_invalid_op 0
		.amdhsa_exception_fp_denorm_src 0
		.amdhsa_exception_fp_ieee_div_zero 0
		.amdhsa_exception_fp_ieee_overflow 0
		.amdhsa_exception_fp_ieee_underflow 0
		.amdhsa_exception_fp_ieee_inexact 0
		.amdhsa_exception_int_div_zero 0
	.end_amdhsa_kernel
	.section	.text._Z17testOperationsGPUI15HIP_vector_typeIlLj2EES0_IlLj1EEEvPT_S4_i,"axG",@progbits,_Z17testOperationsGPUI15HIP_vector_typeIlLj2EES0_IlLj1EEEvPT_S4_i,comdat
.Lfunc_end17:
	.size	_Z17testOperationsGPUI15HIP_vector_typeIlLj2EES0_IlLj1EEEvPT_S4_i, .Lfunc_end17-_Z17testOperationsGPUI15HIP_vector_typeIlLj2EES0_IlLj1EEEvPT_S4_i
                                        ; -- End function
	.set _Z17testOperationsGPUI15HIP_vector_typeIlLj2EES0_IlLj1EEEvPT_S4_i.num_vgpr, 5
	.set _Z17testOperationsGPUI15HIP_vector_typeIlLj2EES0_IlLj1EEEvPT_S4_i.num_agpr, 0
	.set _Z17testOperationsGPUI15HIP_vector_typeIlLj2EES0_IlLj1EEEvPT_S4_i.numbered_sgpr, 6
	.set _Z17testOperationsGPUI15HIP_vector_typeIlLj2EES0_IlLj1EEEvPT_S4_i.num_named_barrier, 0
	.set _Z17testOperationsGPUI15HIP_vector_typeIlLj2EES0_IlLj1EEEvPT_S4_i.private_seg_size, 0
	.set _Z17testOperationsGPUI15HIP_vector_typeIlLj2EES0_IlLj1EEEvPT_S4_i.uses_vcc, 1
	.set _Z17testOperationsGPUI15HIP_vector_typeIlLj2EES0_IlLj1EEEvPT_S4_i.uses_flat_scratch, 0
	.set _Z17testOperationsGPUI15HIP_vector_typeIlLj2EES0_IlLj1EEEvPT_S4_i.has_dyn_sized_stack, 0
	.set _Z17testOperationsGPUI15HIP_vector_typeIlLj2EES0_IlLj1EEEvPT_S4_i.has_recursion, 0
	.set _Z17testOperationsGPUI15HIP_vector_typeIlLj2EES0_IlLj1EEEvPT_S4_i.has_indirect_call, 0
	.section	.AMDGPU.csdata,"",@progbits
; Kernel info:
; codeLenInByte = 148
; TotalNumSgprs: 10
; NumVgprs: 5
; ScratchSize: 0
; MemoryBound: 1
; FloatMode: 240
; IeeeMode: 1
; LDSByteSize: 0 bytes/workgroup (compile time only)
; SGPRBlocks: 1
; VGPRBlocks: 1
; NumSGPRsForWavesPerEU: 10
; NumVGPRsForWavesPerEU: 5
; Occupancy: 10
; WaveLimiterHint : 1
; COMPUTE_PGM_RSRC2:SCRATCH_EN: 0
; COMPUTE_PGM_RSRC2:USER_SGPR: 6
; COMPUTE_PGM_RSRC2:TRAP_HANDLER: 0
; COMPUTE_PGM_RSRC2:TGID_X_EN: 1
; COMPUTE_PGM_RSRC2:TGID_Y_EN: 0
; COMPUTE_PGM_RSRC2:TGID_Z_EN: 0
; COMPUTE_PGM_RSRC2:TIDIG_COMP_CNT: 0
	.section	.text._Z17testOperationsGPUI15HIP_vector_typeIlLj3EES0_IlLj1EEEvPT_S4_i,"axG",@progbits,_Z17testOperationsGPUI15HIP_vector_typeIlLj3EES0_IlLj1EEEvPT_S4_i,comdat
	.protected	_Z17testOperationsGPUI15HIP_vector_typeIlLj3EES0_IlLj1EEEvPT_S4_i ; -- Begin function _Z17testOperationsGPUI15HIP_vector_typeIlLj3EES0_IlLj1EEEvPT_S4_i
	.globl	_Z17testOperationsGPUI15HIP_vector_typeIlLj3EES0_IlLj1EEEvPT_S4_i
	.p2align	8
	.type	_Z17testOperationsGPUI15HIP_vector_typeIlLj3EES0_IlLj1EEEvPT_S4_i,@function
_Z17testOperationsGPUI15HIP_vector_typeIlLj3EES0_IlLj1EEEvPT_S4_i: ; @_Z17testOperationsGPUI15HIP_vector_typeIlLj3EES0_IlLj1EEEvPT_S4_i
; %bb.0:
	s_load_dword s0, s[4:5], 0x10
	s_waitcnt lgkmcnt(0)
	v_cmp_ge_i32_e32 vcc, s0, v0
	s_and_saveexec_b64 s[0:1], vcc
	s_cbranch_execz .LBB18_8
; %bb.1:
	s_load_dwordx4 s[0:3], s[4:5], 0x0
	s_waitcnt lgkmcnt(0)
	v_mov_b32_e32 v3, s2
	v_mov_b32_e32 v4, s3
	;; [unrolled: 1-line block ×4, first 2 shown]
	v_mad_u64_u32 v[6:7], s[0:1], v0, 24, v[3:4]
	v_mad_u64_u32 v[4:5], s[0:1], v0, 24, v[1:2]
	global_load_dwordx2 v[0:1], v[6:7], off
	global_load_dwordx2 v[2:3], v[4:5], off
	s_waitcnt vmcnt(0)
	v_add_co_u32_e32 v0, vcc, v0, v2
	v_addc_co_u32_e32 v1, vcc, v1, v3, vcc
	v_add_co_u32_e32 v0, vcc, 1, v0
	v_addc_co_u32_e32 v1, vcc, 0, v1, vcc
	global_store_dwordx2 v[4:5], v[0:1], off
	global_load_dwordx2 v[2:3], v[6:7], off
	s_waitcnt vmcnt(0)
	v_add_co_u32_e32 v0, vcc, 1, v2
	v_addc_co_u32_e32 v1, vcc, 0, v3, vcc
	global_store_dwordx2 v[4:5], v[0:1], off offset:8
	global_load_dwordx2 v[8:9], v[6:7], off offset:8
	s_waitcnt vmcnt(0)
	v_cmp_lt_i64_e32 vcc, 0, v[8:9]
	global_store_dwordx2 v[6:7], v[0:1], off
	global_store_dwordx2 v[4:5], v[8:9], off
	s_and_saveexec_b64 s[2:3], vcc
	s_cbranch_execz .LBB18_7
; %bb.2:
	global_load_dwordx2 v[0:1], v[6:7], off
	v_mov_b32_e32 v10, 0
	s_waitcnt vmcnt(0)
	v_or_b32_e32 v11, v1, v9
	v_cmp_ne_u64_e32 vcc, 0, v[10:11]
                                        ; implicit-def: $vgpr10_vgpr11
	s_and_saveexec_b64 s[0:1], vcc
	s_xor_b64 s[4:5], exec, s[0:1]
	s_cbranch_execz .LBB18_4
; %bb.3:
	v_ashrrev_i32_e32 v15, 31, v9
	v_add_co_u32_e32 v8, vcc, v8, v15
	v_addc_co_u32_e32 v9, vcc, v9, v15, vcc
	v_xor_b32_e32 v16, v9, v15
	v_xor_b32_e32 v17, v8, v15
	v_cvt_f32_u32_e32 v8, v17
	v_cvt_f32_u32_e32 v9, v16
	v_sub_co_u32_e32 v13, vcc, 0, v17
	v_subb_co_u32_e32 v14, vcc, 0, v16, vcc
	v_madmk_f32 v8, v9, 0x4f800000, v8
	v_rcp_f32_e32 v8, v8
	v_mul_f32_e32 v8, 0x5f7ffffc, v8
	v_mul_f32_e32 v9, 0x2f800000, v8
	v_trunc_f32_e32 v9, v9
	v_madmk_f32 v8, v9, 0xcf800000, v8
	v_cvt_u32_f32_e32 v12, v8
	v_cvt_u32_f32_e32 v18, v9
	v_mul_lo_u32 v10, v14, v12
	v_mad_u64_u32 v[8:9], s[0:1], v13, v12, 0
	v_mul_lo_u32 v11, v13, v18
	v_mul_hi_u32 v19, v12, v8
	v_add3_u32 v11, v9, v11, v10
	v_mad_u64_u32 v[9:10], s[0:1], v12, v11, 0
	v_add_co_u32_e32 v19, vcc, v19, v9
	v_mad_u64_u32 v[8:9], s[0:1], v18, v8, 0
	v_addc_co_u32_e32 v20, vcc, 0, v10, vcc
	v_mad_u64_u32 v[10:11], s[0:1], v18, v11, 0
	v_add_co_u32_e32 v8, vcc, v19, v8
	v_addc_co_u32_e32 v8, vcc, v20, v9, vcc
	v_addc_co_u32_e32 v9, vcc, 0, v11, vcc
	v_add_co_u32_e32 v8, vcc, v8, v10
	v_addc_co_u32_e32 v9, vcc, 0, v9, vcc
	v_add_co_u32_e32 v19, vcc, v12, v8
	v_addc_co_u32_e32 v18, vcc, v18, v9, vcc
	v_mul_lo_u32 v10, v13, v18
	v_mul_lo_u32 v11, v14, v19
	v_mad_u64_u32 v[8:9], s[0:1], v13, v19, 0
	v_add3_u32 v11, v9, v10, v11
	v_mad_u64_u32 v[9:10], s[0:1], v18, v11, 0
	v_mad_u64_u32 v[11:12], s[0:1], v19, v11, 0
	v_mul_hi_u32 v20, v19, v8
	v_mad_u64_u32 v[13:14], s[0:1], v18, v8, 0
	v_add_co_u32_e32 v8, vcc, v20, v11
	v_addc_co_u32_e32 v11, vcc, 0, v12, vcc
	v_add_co_u32_e32 v8, vcc, v8, v13
	v_addc_co_u32_e32 v8, vcc, v11, v14, vcc
	v_addc_co_u32_e32 v10, vcc, 0, v10, vcc
	v_add_co_u32_e32 v8, vcc, v8, v9
	v_addc_co_u32_e32 v9, vcc, 0, v10, vcc
	v_add_co_u32_e32 v8, vcc, v19, v8
	v_addc_co_u32_e32 v9, vcc, v18, v9, vcc
	v_ashrrev_i32_e32 v10, 31, v1
	v_add_co_u32_e32 v0, vcc, v0, v10
	v_xor_b32_e32 v12, v0, v10
	v_addc_co_u32_e32 v11, vcc, v1, v10, vcc
	v_mad_u64_u32 v[0:1], s[0:1], v12, v9, 0
	v_mul_hi_u32 v13, v12, v8
	v_xor_b32_e32 v11, v11, v10
	v_add_co_u32_e32 v13, vcc, v13, v0
	v_addc_co_u32_e32 v14, vcc, 0, v1, vcc
	v_mad_u64_u32 v[0:1], s[0:1], v11, v8, 0
	v_mad_u64_u32 v[8:9], s[0:1], v11, v9, 0
	v_add_co_u32_e32 v0, vcc, v13, v0
	v_addc_co_u32_e32 v0, vcc, v14, v1, vcc
	v_addc_co_u32_e32 v1, vcc, 0, v9, vcc
	v_add_co_u32_e32 v8, vcc, v0, v8
	v_addc_co_u32_e32 v9, vcc, 0, v1, vcc
	v_mul_lo_u32 v13, v16, v8
	v_mul_lo_u32 v14, v17, v9
	v_mad_u64_u32 v[0:1], s[0:1], v17, v8, 0
	v_add3_u32 v1, v1, v14, v13
	v_sub_u32_e32 v13, v11, v1
	v_sub_co_u32_e32 v0, vcc, v12, v0
	v_subb_co_u32_e64 v12, s[0:1], v13, v16, vcc
	v_sub_co_u32_e64 v13, s[0:1], v0, v17
	v_subbrev_co_u32_e64 v12, s[0:1], 0, v12, s[0:1]
	v_cmp_ge_u32_e64 s[0:1], v12, v16
	v_cndmask_b32_e64 v14, 0, -1, s[0:1]
	v_cmp_ge_u32_e64 s[0:1], v13, v17
	v_cndmask_b32_e64 v13, 0, -1, s[0:1]
	v_cmp_eq_u32_e64 s[0:1], v12, v16
	v_cndmask_b32_e64 v12, v14, v13, s[0:1]
	v_add_co_u32_e64 v13, s[0:1], 2, v8
	v_subb_co_u32_e32 v1, vcc, v11, v1, vcc
	v_addc_co_u32_e64 v14, s[0:1], 0, v9, s[0:1]
	v_cmp_ge_u32_e32 vcc, v1, v16
	v_add_co_u32_e64 v18, s[0:1], 1, v8
	v_cndmask_b32_e64 v11, 0, -1, vcc
	v_cmp_ge_u32_e32 vcc, v0, v17
	v_addc_co_u32_e64 v19, s[0:1], 0, v9, s[0:1]
	v_cndmask_b32_e64 v0, 0, -1, vcc
	v_cmp_eq_u32_e32 vcc, v1, v16
	v_cmp_ne_u32_e64 s[0:1], 0, v12
	v_cndmask_b32_e32 v0, v11, v0, vcc
	v_cmp_ne_u32_e32 vcc, 0, v0
	v_cndmask_b32_e64 v1, v18, v13, s[0:1]
	v_cndmask_b32_e64 v12, v19, v14, s[0:1]
	v_cndmask_b32_e32 v1, v8, v1, vcc
	v_xor_b32_e32 v8, v10, v15
	v_cndmask_b32_e32 v0, v9, v12, vcc
	v_xor_b32_e32 v1, v1, v8
	v_xor_b32_e32 v0, v0, v8
	v_sub_co_u32_e32 v10, vcc, v1, v8
	v_subb_co_u32_e32 v11, vcc, v0, v8, vcc
                                        ; implicit-def: $vgpr8_vgpr9
                                        ; implicit-def: $vgpr0_vgpr1
.LBB18_4:
	s_andn2_saveexec_b64 s[0:1], s[4:5]
	s_cbranch_execz .LBB18_6
; %bb.5:
	v_cvt_f32_u32_e32 v1, v8
	v_sub_u32_e32 v9, 0, v8
	v_mov_b32_e32 v11, 0
	v_rcp_iflag_f32_e32 v1, v1
	v_mul_f32_e32 v1, 0x4f7ffffe, v1
	v_cvt_u32_f32_e32 v1, v1
	v_mul_lo_u32 v9, v9, v1
	v_mul_hi_u32 v9, v1, v9
	v_add_u32_e32 v1, v1, v9
	v_mul_hi_u32 v1, v0, v1
	v_mul_lo_u32 v9, v1, v8
	v_add_u32_e32 v10, 1, v1
	v_sub_u32_e32 v0, v0, v9
	v_sub_u32_e32 v9, v0, v8
	v_cmp_ge_u32_e32 vcc, v0, v8
	v_cndmask_b32_e32 v0, v0, v9, vcc
	v_cndmask_b32_e32 v1, v1, v10, vcc
	v_add_u32_e32 v9, 1, v1
	v_cmp_ge_u32_e32 vcc, v0, v8
	v_cndmask_b32_e32 v10, v1, v9, vcc
.LBB18_6:
	s_or_b64 exec, exec, s[0:1]
	global_store_dwordx2 v[6:7], v[10:11], off
	global_load_dwordx2 v[8:9], v[4:5], off
.LBB18_7:
	s_or_b64 exec, exec, s[2:3]
	global_load_dwordx2 v[0:1], v[6:7], off offset:16
	s_waitcnt vmcnt(0)
	v_mul_lo_u32 v6, v1, v8
	v_mul_lo_u32 v7, v0, v9
	v_mad_u64_u32 v[0:1], s[0:1], v0, v8, 0
	v_add3_u32 v1, v1, v7, v6
	global_store_dwordx4 v[4:5], v[0:3], off
.LBB18_8:
	s_endpgm
	.section	.rodata,"a",@progbits
	.p2align	6, 0x0
	.amdhsa_kernel _Z17testOperationsGPUI15HIP_vector_typeIlLj3EES0_IlLj1EEEvPT_S4_i
		.amdhsa_group_segment_fixed_size 0
		.amdhsa_private_segment_fixed_size 0
		.amdhsa_kernarg_size 20
		.amdhsa_user_sgpr_count 6
		.amdhsa_user_sgpr_private_segment_buffer 1
		.amdhsa_user_sgpr_dispatch_ptr 0
		.amdhsa_user_sgpr_queue_ptr 0
		.amdhsa_user_sgpr_kernarg_segment_ptr 1
		.amdhsa_user_sgpr_dispatch_id 0
		.amdhsa_user_sgpr_flat_scratch_init 0
		.amdhsa_user_sgpr_private_segment_size 0
		.amdhsa_uses_dynamic_stack 0
		.amdhsa_system_sgpr_private_segment_wavefront_offset 0
		.amdhsa_system_sgpr_workgroup_id_x 1
		.amdhsa_system_sgpr_workgroup_id_y 0
		.amdhsa_system_sgpr_workgroup_id_z 0
		.amdhsa_system_sgpr_workgroup_info 0
		.amdhsa_system_vgpr_workitem_id 0
		.amdhsa_next_free_vgpr 21
		.amdhsa_next_free_sgpr 6
		.amdhsa_reserve_vcc 1
		.amdhsa_reserve_flat_scratch 0
		.amdhsa_float_round_mode_32 0
		.amdhsa_float_round_mode_16_64 0
		.amdhsa_float_denorm_mode_32 3
		.amdhsa_float_denorm_mode_16_64 3
		.amdhsa_dx10_clamp 1
		.amdhsa_ieee_mode 1
		.amdhsa_fp16_overflow 0
		.amdhsa_exception_fp_ieee_invalid_op 0
		.amdhsa_exception_fp_denorm_src 0
		.amdhsa_exception_fp_ieee_div_zero 0
		.amdhsa_exception_fp_ieee_overflow 0
		.amdhsa_exception_fp_ieee_underflow 0
		.amdhsa_exception_fp_ieee_inexact 0
		.amdhsa_exception_int_div_zero 0
	.end_amdhsa_kernel
	.section	.text._Z17testOperationsGPUI15HIP_vector_typeIlLj3EES0_IlLj1EEEvPT_S4_i,"axG",@progbits,_Z17testOperationsGPUI15HIP_vector_typeIlLj3EES0_IlLj1EEEvPT_S4_i,comdat
.Lfunc_end18:
	.size	_Z17testOperationsGPUI15HIP_vector_typeIlLj3EES0_IlLj1EEEvPT_S4_i, .Lfunc_end18-_Z17testOperationsGPUI15HIP_vector_typeIlLj3EES0_IlLj1EEEvPT_S4_i
                                        ; -- End function
	.set _Z17testOperationsGPUI15HIP_vector_typeIlLj3EES0_IlLj1EEEvPT_S4_i.num_vgpr, 21
	.set _Z17testOperationsGPUI15HIP_vector_typeIlLj3EES0_IlLj1EEEvPT_S4_i.num_agpr, 0
	.set _Z17testOperationsGPUI15HIP_vector_typeIlLj3EES0_IlLj1EEEvPT_S4_i.numbered_sgpr, 6
	.set _Z17testOperationsGPUI15HIP_vector_typeIlLj3EES0_IlLj1EEEvPT_S4_i.num_named_barrier, 0
	.set _Z17testOperationsGPUI15HIP_vector_typeIlLj3EES0_IlLj1EEEvPT_S4_i.private_seg_size, 0
	.set _Z17testOperationsGPUI15HIP_vector_typeIlLj3EES0_IlLj1EEEvPT_S4_i.uses_vcc, 1
	.set _Z17testOperationsGPUI15HIP_vector_typeIlLj3EES0_IlLj1EEEvPT_S4_i.uses_flat_scratch, 0
	.set _Z17testOperationsGPUI15HIP_vector_typeIlLj3EES0_IlLj1EEEvPT_S4_i.has_dyn_sized_stack, 0
	.set _Z17testOperationsGPUI15HIP_vector_typeIlLj3EES0_IlLj1EEEvPT_S4_i.has_recursion, 0
	.set _Z17testOperationsGPUI15HIP_vector_typeIlLj3EES0_IlLj1EEEvPT_S4_i.has_indirect_call, 0
	.section	.AMDGPU.csdata,"",@progbits
; Kernel info:
; codeLenInByte = 1012
; TotalNumSgprs: 10
; NumVgprs: 21
; ScratchSize: 0
; MemoryBound: 0
; FloatMode: 240
; IeeeMode: 1
; LDSByteSize: 0 bytes/workgroup (compile time only)
; SGPRBlocks: 1
; VGPRBlocks: 5
; NumSGPRsForWavesPerEU: 10
; NumVGPRsForWavesPerEU: 21
; Occupancy: 10
; WaveLimiterHint : 0
; COMPUTE_PGM_RSRC2:SCRATCH_EN: 0
; COMPUTE_PGM_RSRC2:USER_SGPR: 6
; COMPUTE_PGM_RSRC2:TRAP_HANDLER: 0
; COMPUTE_PGM_RSRC2:TGID_X_EN: 1
; COMPUTE_PGM_RSRC2:TGID_Y_EN: 0
; COMPUTE_PGM_RSRC2:TGID_Z_EN: 0
; COMPUTE_PGM_RSRC2:TIDIG_COMP_CNT: 0
	.section	.text._Z17testOperationsGPUI15HIP_vector_typeIlLj4EES0_IlLj1EEEvPT_S4_i,"axG",@progbits,_Z17testOperationsGPUI15HIP_vector_typeIlLj4EES0_IlLj1EEEvPT_S4_i,comdat
	.protected	_Z17testOperationsGPUI15HIP_vector_typeIlLj4EES0_IlLj1EEEvPT_S4_i ; -- Begin function _Z17testOperationsGPUI15HIP_vector_typeIlLj4EES0_IlLj1EEEvPT_S4_i
	.globl	_Z17testOperationsGPUI15HIP_vector_typeIlLj4EES0_IlLj1EEEvPT_S4_i
	.p2align	8
	.type	_Z17testOperationsGPUI15HIP_vector_typeIlLj4EES0_IlLj1EEEvPT_S4_i,@function
_Z17testOperationsGPUI15HIP_vector_typeIlLj4EES0_IlLj1EEEvPT_S4_i: ; @_Z17testOperationsGPUI15HIP_vector_typeIlLj4EES0_IlLj1EEEvPT_S4_i
; %bb.0:
	s_load_dword s0, s[4:5], 0x10
	s_waitcnt lgkmcnt(0)
	v_cmp_ge_i32_e32 vcc, s0, v0
	s_and_saveexec_b64 s[0:1], vcc
	s_cbranch_execz .LBB19_8
; %bb.1:
	s_load_dwordx4 s[0:3], s[4:5], 0x0
	v_lshlrev_b32_e32 v11, 5, v0
	v_mov_b32_e32 v10, 0
	s_waitcnt lgkmcnt(0)
	global_load_dwordx2 v[0:1], v11, s[2:3]
	global_load_dwordx2 v[2:3], v11, s[0:1]
	v_mov_b32_e32 v5, s1
	v_mov_b32_e32 v7, s3
	s_waitcnt vmcnt(0)
	v_add_co_u32_e32 v0, vcc, v0, v2
	v_addc_co_u32_e32 v1, vcc, v1, v3, vcc
	v_add_co_u32_e32 v0, vcc, 1, v0
	v_addc_co_u32_e32 v1, vcc, 0, v1, vcc
	global_store_dwordx2 v11, v[0:1], s[0:1]
	global_load_dwordx2 v[2:3], v11, s[2:3]
	s_waitcnt vmcnt(0)
	v_add_co_u32_e32 v0, vcc, 1, v2
	v_addc_co_u32_e32 v1, vcc, 0, v3, vcc
	global_store_dwordx2 v11, v[0:1], s[0:1] offset:8
	global_load_dwordx2 v[8:9], v11, s[2:3] offset:8
	v_add_co_u32_e32 v4, vcc, s0, v11
	v_addc_co_u32_e32 v5, vcc, 0, v5, vcc
	v_add_co_u32_e32 v6, vcc, s2, v11
	v_addc_co_u32_e32 v7, vcc, 0, v7, vcc
	global_store_dwordx2 v11, v[0:1], s[2:3]
	s_waitcnt vmcnt(1)
	v_cmp_lt_i64_e32 vcc, 0, v[8:9]
	global_store_dwordx2 v11, v[8:9], s[0:1]
	s_and_saveexec_b64 s[2:3], vcc
	s_cbranch_execz .LBB19_7
; %bb.2:
	global_load_dwordx2 v[0:1], v[6:7], off
	s_waitcnt vmcnt(0)
	v_or_b32_e32 v11, v1, v9
	v_cmp_ne_u64_e32 vcc, 0, v[10:11]
                                        ; implicit-def: $vgpr10_vgpr11
	s_and_saveexec_b64 s[0:1], vcc
	s_xor_b64 s[4:5], exec, s[0:1]
	s_cbranch_execz .LBB19_4
; %bb.3:
	v_ashrrev_i32_e32 v15, 31, v9
	v_add_co_u32_e32 v8, vcc, v8, v15
	v_addc_co_u32_e32 v9, vcc, v9, v15, vcc
	v_xor_b32_e32 v16, v9, v15
	v_xor_b32_e32 v17, v8, v15
	v_cvt_f32_u32_e32 v8, v17
	v_cvt_f32_u32_e32 v9, v16
	v_sub_co_u32_e32 v13, vcc, 0, v17
	v_subb_co_u32_e32 v14, vcc, 0, v16, vcc
	v_madmk_f32 v8, v9, 0x4f800000, v8
	v_rcp_f32_e32 v8, v8
	v_mul_f32_e32 v8, 0x5f7ffffc, v8
	v_mul_f32_e32 v9, 0x2f800000, v8
	v_trunc_f32_e32 v9, v9
	v_madmk_f32 v8, v9, 0xcf800000, v8
	v_cvt_u32_f32_e32 v12, v8
	v_cvt_u32_f32_e32 v18, v9
	v_mul_lo_u32 v10, v14, v12
	v_mad_u64_u32 v[8:9], s[0:1], v13, v12, 0
	v_mul_lo_u32 v11, v13, v18
	v_mul_hi_u32 v19, v12, v8
	v_add3_u32 v11, v9, v11, v10
	v_mad_u64_u32 v[9:10], s[0:1], v12, v11, 0
	v_add_co_u32_e32 v19, vcc, v19, v9
	v_mad_u64_u32 v[8:9], s[0:1], v18, v8, 0
	v_addc_co_u32_e32 v20, vcc, 0, v10, vcc
	v_mad_u64_u32 v[10:11], s[0:1], v18, v11, 0
	v_add_co_u32_e32 v8, vcc, v19, v8
	v_addc_co_u32_e32 v8, vcc, v20, v9, vcc
	v_addc_co_u32_e32 v9, vcc, 0, v11, vcc
	v_add_co_u32_e32 v8, vcc, v8, v10
	v_addc_co_u32_e32 v9, vcc, 0, v9, vcc
	v_add_co_u32_e32 v19, vcc, v12, v8
	v_addc_co_u32_e32 v18, vcc, v18, v9, vcc
	v_mul_lo_u32 v10, v13, v18
	v_mul_lo_u32 v11, v14, v19
	v_mad_u64_u32 v[8:9], s[0:1], v13, v19, 0
	v_add3_u32 v11, v9, v10, v11
	v_mad_u64_u32 v[9:10], s[0:1], v18, v11, 0
	v_mad_u64_u32 v[11:12], s[0:1], v19, v11, 0
	v_mul_hi_u32 v20, v19, v8
	v_mad_u64_u32 v[13:14], s[0:1], v18, v8, 0
	v_add_co_u32_e32 v8, vcc, v20, v11
	v_addc_co_u32_e32 v11, vcc, 0, v12, vcc
	v_add_co_u32_e32 v8, vcc, v8, v13
	v_addc_co_u32_e32 v8, vcc, v11, v14, vcc
	v_addc_co_u32_e32 v10, vcc, 0, v10, vcc
	v_add_co_u32_e32 v8, vcc, v8, v9
	v_addc_co_u32_e32 v9, vcc, 0, v10, vcc
	v_add_co_u32_e32 v8, vcc, v19, v8
	v_addc_co_u32_e32 v9, vcc, v18, v9, vcc
	v_ashrrev_i32_e32 v10, 31, v1
	v_add_co_u32_e32 v0, vcc, v0, v10
	v_xor_b32_e32 v12, v0, v10
	v_addc_co_u32_e32 v11, vcc, v1, v10, vcc
	v_mad_u64_u32 v[0:1], s[0:1], v12, v9, 0
	v_mul_hi_u32 v13, v12, v8
	v_xor_b32_e32 v11, v11, v10
	v_add_co_u32_e32 v13, vcc, v13, v0
	v_addc_co_u32_e32 v14, vcc, 0, v1, vcc
	v_mad_u64_u32 v[0:1], s[0:1], v11, v8, 0
	v_mad_u64_u32 v[8:9], s[0:1], v11, v9, 0
	v_add_co_u32_e32 v0, vcc, v13, v0
	v_addc_co_u32_e32 v0, vcc, v14, v1, vcc
	v_addc_co_u32_e32 v1, vcc, 0, v9, vcc
	v_add_co_u32_e32 v8, vcc, v0, v8
	v_addc_co_u32_e32 v9, vcc, 0, v1, vcc
	v_mul_lo_u32 v13, v16, v8
	v_mul_lo_u32 v14, v17, v9
	v_mad_u64_u32 v[0:1], s[0:1], v17, v8, 0
	v_add3_u32 v1, v1, v14, v13
	v_sub_u32_e32 v13, v11, v1
	v_sub_co_u32_e32 v0, vcc, v12, v0
	v_subb_co_u32_e64 v12, s[0:1], v13, v16, vcc
	v_sub_co_u32_e64 v13, s[0:1], v0, v17
	v_subbrev_co_u32_e64 v12, s[0:1], 0, v12, s[0:1]
	v_cmp_ge_u32_e64 s[0:1], v12, v16
	v_cndmask_b32_e64 v14, 0, -1, s[0:1]
	v_cmp_ge_u32_e64 s[0:1], v13, v17
	v_cndmask_b32_e64 v13, 0, -1, s[0:1]
	v_cmp_eq_u32_e64 s[0:1], v12, v16
	v_cndmask_b32_e64 v12, v14, v13, s[0:1]
	v_add_co_u32_e64 v13, s[0:1], 2, v8
	v_subb_co_u32_e32 v1, vcc, v11, v1, vcc
	v_addc_co_u32_e64 v14, s[0:1], 0, v9, s[0:1]
	v_cmp_ge_u32_e32 vcc, v1, v16
	v_add_co_u32_e64 v18, s[0:1], 1, v8
	v_cndmask_b32_e64 v11, 0, -1, vcc
	v_cmp_ge_u32_e32 vcc, v0, v17
	v_addc_co_u32_e64 v19, s[0:1], 0, v9, s[0:1]
	v_cndmask_b32_e64 v0, 0, -1, vcc
	v_cmp_eq_u32_e32 vcc, v1, v16
	v_cmp_ne_u32_e64 s[0:1], 0, v12
	v_cndmask_b32_e32 v0, v11, v0, vcc
	v_cmp_ne_u32_e32 vcc, 0, v0
	v_cndmask_b32_e64 v1, v18, v13, s[0:1]
	v_cndmask_b32_e64 v12, v19, v14, s[0:1]
	v_cndmask_b32_e32 v1, v8, v1, vcc
	v_xor_b32_e32 v8, v10, v15
	v_cndmask_b32_e32 v0, v9, v12, vcc
	v_xor_b32_e32 v1, v1, v8
	v_xor_b32_e32 v0, v0, v8
	v_sub_co_u32_e32 v10, vcc, v1, v8
	v_subb_co_u32_e32 v11, vcc, v0, v8, vcc
                                        ; implicit-def: $vgpr8_vgpr9
                                        ; implicit-def: $vgpr0_vgpr1
.LBB19_4:
	s_andn2_saveexec_b64 s[0:1], s[4:5]
	s_cbranch_execz .LBB19_6
; %bb.5:
	v_cvt_f32_u32_e32 v1, v8
	v_sub_u32_e32 v9, 0, v8
	v_mov_b32_e32 v11, 0
	v_rcp_iflag_f32_e32 v1, v1
	v_mul_f32_e32 v1, 0x4f7ffffe, v1
	v_cvt_u32_f32_e32 v1, v1
	v_mul_lo_u32 v9, v9, v1
	v_mul_hi_u32 v9, v1, v9
	v_add_u32_e32 v1, v1, v9
	v_mul_hi_u32 v1, v0, v1
	v_mul_lo_u32 v9, v1, v8
	v_add_u32_e32 v10, 1, v1
	v_sub_u32_e32 v0, v0, v9
	v_sub_u32_e32 v9, v0, v8
	v_cmp_ge_u32_e32 vcc, v0, v8
	v_cndmask_b32_e32 v0, v0, v9, vcc
	v_cndmask_b32_e32 v1, v1, v10, vcc
	v_add_u32_e32 v9, 1, v1
	v_cmp_ge_u32_e32 vcc, v0, v8
	v_cndmask_b32_e32 v10, v1, v9, vcc
.LBB19_6:
	s_or_b64 exec, exec, s[0:1]
	global_store_dwordx2 v[6:7], v[10:11], off
	global_load_dwordx2 v[8:9], v[4:5], off
.LBB19_7:
	s_or_b64 exec, exec, s[2:3]
	global_load_dwordx2 v[0:1], v[6:7], off offset:16
	s_waitcnt vmcnt(0)
	v_mul_lo_u32 v10, v1, v8
	v_mul_lo_u32 v9, v0, v9
	v_mad_u64_u32 v[0:1], s[0:1], v0, v8, 0
	v_add3_u32 v1, v1, v9, v10
	global_store_dwordx4 v[4:5], v[0:3], off
	global_store_dwordx2 v[6:7], v[0:1], off offset:24
	global_load_dwordx2 v[0:1], v[6:7], off offset:8
	s_nop 0
	global_load_dwordx2 v[2:3], v[4:5], off offset:24
	s_waitcnt vmcnt(0)
	v_sub_co_u32_e32 v0, vcc, v2, v0
	v_subb_co_u32_e32 v1, vcc, v3, v1, vcc
	global_store_dwordx2 v[4:5], v[0:1], off offset:24
.LBB19_8:
	s_endpgm
	.section	.rodata,"a",@progbits
	.p2align	6, 0x0
	.amdhsa_kernel _Z17testOperationsGPUI15HIP_vector_typeIlLj4EES0_IlLj1EEEvPT_S4_i
		.amdhsa_group_segment_fixed_size 0
		.amdhsa_private_segment_fixed_size 0
		.amdhsa_kernarg_size 20
		.amdhsa_user_sgpr_count 6
		.amdhsa_user_sgpr_private_segment_buffer 1
		.amdhsa_user_sgpr_dispatch_ptr 0
		.amdhsa_user_sgpr_queue_ptr 0
		.amdhsa_user_sgpr_kernarg_segment_ptr 1
		.amdhsa_user_sgpr_dispatch_id 0
		.amdhsa_user_sgpr_flat_scratch_init 0
		.amdhsa_user_sgpr_private_segment_size 0
		.amdhsa_uses_dynamic_stack 0
		.amdhsa_system_sgpr_private_segment_wavefront_offset 0
		.amdhsa_system_sgpr_workgroup_id_x 1
		.amdhsa_system_sgpr_workgroup_id_y 0
		.amdhsa_system_sgpr_workgroup_id_z 0
		.amdhsa_system_sgpr_workgroup_info 0
		.amdhsa_system_vgpr_workitem_id 0
		.amdhsa_next_free_vgpr 21
		.amdhsa_next_free_sgpr 6
		.amdhsa_reserve_vcc 1
		.amdhsa_reserve_flat_scratch 0
		.amdhsa_float_round_mode_32 0
		.amdhsa_float_round_mode_16_64 0
		.amdhsa_float_denorm_mode_32 3
		.amdhsa_float_denorm_mode_16_64 3
		.amdhsa_dx10_clamp 1
		.amdhsa_ieee_mode 1
		.amdhsa_fp16_overflow 0
		.amdhsa_exception_fp_ieee_invalid_op 0
		.amdhsa_exception_fp_denorm_src 0
		.amdhsa_exception_fp_ieee_div_zero 0
		.amdhsa_exception_fp_ieee_overflow 0
		.amdhsa_exception_fp_ieee_underflow 0
		.amdhsa_exception_fp_ieee_inexact 0
		.amdhsa_exception_int_div_zero 0
	.end_amdhsa_kernel
	.section	.text._Z17testOperationsGPUI15HIP_vector_typeIlLj4EES0_IlLj1EEEvPT_S4_i,"axG",@progbits,_Z17testOperationsGPUI15HIP_vector_typeIlLj4EES0_IlLj1EEEvPT_S4_i,comdat
.Lfunc_end19:
	.size	_Z17testOperationsGPUI15HIP_vector_typeIlLj4EES0_IlLj1EEEvPT_S4_i, .Lfunc_end19-_Z17testOperationsGPUI15HIP_vector_typeIlLj4EES0_IlLj1EEEvPT_S4_i
                                        ; -- End function
	.set _Z17testOperationsGPUI15HIP_vector_typeIlLj4EES0_IlLj1EEEvPT_S4_i.num_vgpr, 21
	.set _Z17testOperationsGPUI15HIP_vector_typeIlLj4EES0_IlLj1EEEvPT_S4_i.num_agpr, 0
	.set _Z17testOperationsGPUI15HIP_vector_typeIlLj4EES0_IlLj1EEEvPT_S4_i.numbered_sgpr, 6
	.set _Z17testOperationsGPUI15HIP_vector_typeIlLj4EES0_IlLj1EEEvPT_S4_i.num_named_barrier, 0
	.set _Z17testOperationsGPUI15HIP_vector_typeIlLj4EES0_IlLj1EEEvPT_S4_i.private_seg_size, 0
	.set _Z17testOperationsGPUI15HIP_vector_typeIlLj4EES0_IlLj1EEEvPT_S4_i.uses_vcc, 1
	.set _Z17testOperationsGPUI15HIP_vector_typeIlLj4EES0_IlLj1EEEvPT_S4_i.uses_flat_scratch, 0
	.set _Z17testOperationsGPUI15HIP_vector_typeIlLj4EES0_IlLj1EEEvPT_S4_i.has_dyn_sized_stack, 0
	.set _Z17testOperationsGPUI15HIP_vector_typeIlLj4EES0_IlLj1EEEvPT_S4_i.has_recursion, 0
	.set _Z17testOperationsGPUI15HIP_vector_typeIlLj4EES0_IlLj1EEEvPT_S4_i.has_indirect_call, 0
	.section	.AMDGPU.csdata,"",@progbits
; Kernel info:
; codeLenInByte = 1056
; TotalNumSgprs: 10
; NumVgprs: 21
; ScratchSize: 0
; MemoryBound: 0
; FloatMode: 240
; IeeeMode: 1
; LDSByteSize: 0 bytes/workgroup (compile time only)
; SGPRBlocks: 1
; VGPRBlocks: 5
; NumSGPRsForWavesPerEU: 10
; NumVGPRsForWavesPerEU: 21
; Occupancy: 10
; WaveLimiterHint : 0
; COMPUTE_PGM_RSRC2:SCRATCH_EN: 0
; COMPUTE_PGM_RSRC2:USER_SGPR: 6
; COMPUTE_PGM_RSRC2:TRAP_HANDLER: 0
; COMPUTE_PGM_RSRC2:TGID_X_EN: 1
; COMPUTE_PGM_RSRC2:TGID_Y_EN: 0
; COMPUTE_PGM_RSRC2:TGID_Z_EN: 0
; COMPUTE_PGM_RSRC2:TIDIG_COMP_CNT: 0
	.section	.text._Z17testOperationsGPUI15HIP_vector_typeIxLj1EES1_EvPT_S3_i,"axG",@progbits,_Z17testOperationsGPUI15HIP_vector_typeIxLj1EES1_EvPT_S3_i,comdat
	.protected	_Z17testOperationsGPUI15HIP_vector_typeIxLj1EES1_EvPT_S3_i ; -- Begin function _Z17testOperationsGPUI15HIP_vector_typeIxLj1EES1_EvPT_S3_i
	.globl	_Z17testOperationsGPUI15HIP_vector_typeIxLj1EES1_EvPT_S3_i
	.p2align	8
	.type	_Z17testOperationsGPUI15HIP_vector_typeIxLj1EES1_EvPT_S3_i,@function
_Z17testOperationsGPUI15HIP_vector_typeIxLj1EES1_EvPT_S3_i: ; @_Z17testOperationsGPUI15HIP_vector_typeIxLj1EES1_EvPT_S3_i
; %bb.0:
	s_load_dword s0, s[4:5], 0x10
	s_waitcnt lgkmcnt(0)
	v_cmp_ge_i32_e32 vcc, s0, v0
	s_and_saveexec_b64 s[0:1], vcc
	s_cbranch_execz .LBB20_2
; %bb.1:
	s_load_dwordx4 s[0:3], s[4:5], 0x0
	v_lshlrev_b32_e32 v4, 3, v0
	s_waitcnt lgkmcnt(0)
	global_load_dwordx2 v[0:1], v4, s[2:3]
	global_load_dwordx2 v[2:3], v4, s[0:1]
	s_waitcnt vmcnt(0)
	v_add_co_u32_e32 v0, vcc, v0, v2
	v_addc_co_u32_e32 v1, vcc, v1, v3, vcc
	v_add_co_u32_e32 v0, vcc, 1, v0
	v_addc_co_u32_e32 v1, vcc, 0, v1, vcc
	global_store_dwordx2 v4, v[0:1], s[0:1]
	global_load_dwordx2 v[0:1], v4, s[2:3]
	s_waitcnt vmcnt(0)
	v_add_co_u32_e32 v0, vcc, 1, v0
	v_addc_co_u32_e32 v1, vcc, 0, v1, vcc
	global_store_dwordx2 v4, v[0:1], s[2:3]
.LBB20_2:
	s_endpgm
	.section	.rodata,"a",@progbits
	.p2align	6, 0x0
	.amdhsa_kernel _Z17testOperationsGPUI15HIP_vector_typeIxLj1EES1_EvPT_S3_i
		.amdhsa_group_segment_fixed_size 0
		.amdhsa_private_segment_fixed_size 0
		.amdhsa_kernarg_size 20
		.amdhsa_user_sgpr_count 6
		.amdhsa_user_sgpr_private_segment_buffer 1
		.amdhsa_user_sgpr_dispatch_ptr 0
		.amdhsa_user_sgpr_queue_ptr 0
		.amdhsa_user_sgpr_kernarg_segment_ptr 1
		.amdhsa_user_sgpr_dispatch_id 0
		.amdhsa_user_sgpr_flat_scratch_init 0
		.amdhsa_user_sgpr_private_segment_size 0
		.amdhsa_uses_dynamic_stack 0
		.amdhsa_system_sgpr_private_segment_wavefront_offset 0
		.amdhsa_system_sgpr_workgroup_id_x 1
		.amdhsa_system_sgpr_workgroup_id_y 0
		.amdhsa_system_sgpr_workgroup_id_z 0
		.amdhsa_system_sgpr_workgroup_info 0
		.amdhsa_system_vgpr_workitem_id 0
		.amdhsa_next_free_vgpr 5
		.amdhsa_next_free_sgpr 6
		.amdhsa_reserve_vcc 1
		.amdhsa_reserve_flat_scratch 0
		.amdhsa_float_round_mode_32 0
		.amdhsa_float_round_mode_16_64 0
		.amdhsa_float_denorm_mode_32 3
		.amdhsa_float_denorm_mode_16_64 3
		.amdhsa_dx10_clamp 1
		.amdhsa_ieee_mode 1
		.amdhsa_fp16_overflow 0
		.amdhsa_exception_fp_ieee_invalid_op 0
		.amdhsa_exception_fp_denorm_src 0
		.amdhsa_exception_fp_ieee_div_zero 0
		.amdhsa_exception_fp_ieee_overflow 0
		.amdhsa_exception_fp_ieee_underflow 0
		.amdhsa_exception_fp_ieee_inexact 0
		.amdhsa_exception_int_div_zero 0
	.end_amdhsa_kernel
	.section	.text._Z17testOperationsGPUI15HIP_vector_typeIxLj1EES1_EvPT_S3_i,"axG",@progbits,_Z17testOperationsGPUI15HIP_vector_typeIxLj1EES1_EvPT_S3_i,comdat
.Lfunc_end20:
	.size	_Z17testOperationsGPUI15HIP_vector_typeIxLj1EES1_EvPT_S3_i, .Lfunc_end20-_Z17testOperationsGPUI15HIP_vector_typeIxLj1EES1_EvPT_S3_i
                                        ; -- End function
	.set _Z17testOperationsGPUI15HIP_vector_typeIxLj1EES1_EvPT_S3_i.num_vgpr, 5
	.set _Z17testOperationsGPUI15HIP_vector_typeIxLj1EES1_EvPT_S3_i.num_agpr, 0
	.set _Z17testOperationsGPUI15HIP_vector_typeIxLj1EES1_EvPT_S3_i.numbered_sgpr, 6
	.set _Z17testOperationsGPUI15HIP_vector_typeIxLj1EES1_EvPT_S3_i.num_named_barrier, 0
	.set _Z17testOperationsGPUI15HIP_vector_typeIxLj1EES1_EvPT_S3_i.private_seg_size, 0
	.set _Z17testOperationsGPUI15HIP_vector_typeIxLj1EES1_EvPT_S3_i.uses_vcc, 1
	.set _Z17testOperationsGPUI15HIP_vector_typeIxLj1EES1_EvPT_S3_i.uses_flat_scratch, 0
	.set _Z17testOperationsGPUI15HIP_vector_typeIxLj1EES1_EvPT_S3_i.has_dyn_sized_stack, 0
	.set _Z17testOperationsGPUI15HIP_vector_typeIxLj1EES1_EvPT_S3_i.has_recursion, 0
	.set _Z17testOperationsGPUI15HIP_vector_typeIxLj1EES1_EvPT_S3_i.has_indirect_call, 0
	.section	.AMDGPU.csdata,"",@progbits
; Kernel info:
; codeLenInByte = 116
; TotalNumSgprs: 10
; NumVgprs: 5
; ScratchSize: 0
; MemoryBound: 0
; FloatMode: 240
; IeeeMode: 1
; LDSByteSize: 0 bytes/workgroup (compile time only)
; SGPRBlocks: 1
; VGPRBlocks: 1
; NumSGPRsForWavesPerEU: 10
; NumVGPRsForWavesPerEU: 5
; Occupancy: 10
; WaveLimiterHint : 0
; COMPUTE_PGM_RSRC2:SCRATCH_EN: 0
; COMPUTE_PGM_RSRC2:USER_SGPR: 6
; COMPUTE_PGM_RSRC2:TRAP_HANDLER: 0
; COMPUTE_PGM_RSRC2:TGID_X_EN: 1
; COMPUTE_PGM_RSRC2:TGID_Y_EN: 0
; COMPUTE_PGM_RSRC2:TGID_Z_EN: 0
; COMPUTE_PGM_RSRC2:TIDIG_COMP_CNT: 0
	.section	.text._Z17testOperationsGPUI15HIP_vector_typeIxLj2EES0_IxLj1EEEvPT_S4_i,"axG",@progbits,_Z17testOperationsGPUI15HIP_vector_typeIxLj2EES0_IxLj1EEEvPT_S4_i,comdat
	.protected	_Z17testOperationsGPUI15HIP_vector_typeIxLj2EES0_IxLj1EEEvPT_S4_i ; -- Begin function _Z17testOperationsGPUI15HIP_vector_typeIxLj2EES0_IxLj1EEEvPT_S4_i
	.globl	_Z17testOperationsGPUI15HIP_vector_typeIxLj2EES0_IxLj1EEEvPT_S4_i
	.p2align	8
	.type	_Z17testOperationsGPUI15HIP_vector_typeIxLj2EES0_IxLj1EEEvPT_S4_i,@function
_Z17testOperationsGPUI15HIP_vector_typeIxLj2EES0_IxLj1EEEvPT_S4_i: ; @_Z17testOperationsGPUI15HIP_vector_typeIxLj2EES0_IxLj1EEEvPT_S4_i
; %bb.0:
	s_load_dword s0, s[4:5], 0x10
	s_waitcnt lgkmcnt(0)
	v_cmp_ge_i32_e32 vcc, s0, v0
	s_and_saveexec_b64 s[0:1], vcc
	s_cbranch_execz .LBB21_2
; %bb.1:
	s_load_dwordx4 s[0:3], s[4:5], 0x0
	v_lshlrev_b32_e32 v4, 4, v0
	s_waitcnt lgkmcnt(0)
	global_load_dwordx2 v[0:1], v4, s[2:3]
	global_load_dwordx2 v[2:3], v4, s[0:1]
	s_waitcnt vmcnt(0)
	v_add_co_u32_e32 v0, vcc, v0, v2
	v_addc_co_u32_e32 v1, vcc, v1, v3, vcc
	v_add_co_u32_e32 v0, vcc, 1, v0
	v_addc_co_u32_e32 v1, vcc, 0, v1, vcc
	global_store_dwordx2 v4, v[0:1], s[0:1]
	global_load_dwordx2 v[0:1], v4, s[2:3]
	s_waitcnt vmcnt(0)
	v_add_co_u32_e32 v0, vcc, 1, v0
	v_addc_co_u32_e32 v1, vcc, 0, v1, vcc
	global_store_dwordx2 v4, v[0:1], s[0:1] offset:8
	global_load_dwordx2 v[2:3], v4, s[2:3] offset:8
	s_nop 0
	global_store_dwordx2 v4, v[0:1], s[2:3]
	s_waitcnt vmcnt(1)
	global_store_dwordx2 v4, v[2:3], s[0:1]
.LBB21_2:
	s_endpgm
	.section	.rodata,"a",@progbits
	.p2align	6, 0x0
	.amdhsa_kernel _Z17testOperationsGPUI15HIP_vector_typeIxLj2EES0_IxLj1EEEvPT_S4_i
		.amdhsa_group_segment_fixed_size 0
		.amdhsa_private_segment_fixed_size 0
		.amdhsa_kernarg_size 20
		.amdhsa_user_sgpr_count 6
		.amdhsa_user_sgpr_private_segment_buffer 1
		.amdhsa_user_sgpr_dispatch_ptr 0
		.amdhsa_user_sgpr_queue_ptr 0
		.amdhsa_user_sgpr_kernarg_segment_ptr 1
		.amdhsa_user_sgpr_dispatch_id 0
		.amdhsa_user_sgpr_flat_scratch_init 0
		.amdhsa_user_sgpr_private_segment_size 0
		.amdhsa_uses_dynamic_stack 0
		.amdhsa_system_sgpr_private_segment_wavefront_offset 0
		.amdhsa_system_sgpr_workgroup_id_x 1
		.amdhsa_system_sgpr_workgroup_id_y 0
		.amdhsa_system_sgpr_workgroup_id_z 0
		.amdhsa_system_sgpr_workgroup_info 0
		.amdhsa_system_vgpr_workitem_id 0
		.amdhsa_next_free_vgpr 5
		.amdhsa_next_free_sgpr 6
		.amdhsa_reserve_vcc 1
		.amdhsa_reserve_flat_scratch 0
		.amdhsa_float_round_mode_32 0
		.amdhsa_float_round_mode_16_64 0
		.amdhsa_float_denorm_mode_32 3
		.amdhsa_float_denorm_mode_16_64 3
		.amdhsa_dx10_clamp 1
		.amdhsa_ieee_mode 1
		.amdhsa_fp16_overflow 0
		.amdhsa_exception_fp_ieee_invalid_op 0
		.amdhsa_exception_fp_denorm_src 0
		.amdhsa_exception_fp_ieee_div_zero 0
		.amdhsa_exception_fp_ieee_overflow 0
		.amdhsa_exception_fp_ieee_underflow 0
		.amdhsa_exception_fp_ieee_inexact 0
		.amdhsa_exception_int_div_zero 0
	.end_amdhsa_kernel
	.section	.text._Z17testOperationsGPUI15HIP_vector_typeIxLj2EES0_IxLj1EEEvPT_S4_i,"axG",@progbits,_Z17testOperationsGPUI15HIP_vector_typeIxLj2EES0_IxLj1EEEvPT_S4_i,comdat
.Lfunc_end21:
	.size	_Z17testOperationsGPUI15HIP_vector_typeIxLj2EES0_IxLj1EEEvPT_S4_i, .Lfunc_end21-_Z17testOperationsGPUI15HIP_vector_typeIxLj2EES0_IxLj1EEEvPT_S4_i
                                        ; -- End function
	.set _Z17testOperationsGPUI15HIP_vector_typeIxLj2EES0_IxLj1EEEvPT_S4_i.num_vgpr, 5
	.set _Z17testOperationsGPUI15HIP_vector_typeIxLj2EES0_IxLj1EEEvPT_S4_i.num_agpr, 0
	.set _Z17testOperationsGPUI15HIP_vector_typeIxLj2EES0_IxLj1EEEvPT_S4_i.numbered_sgpr, 6
	.set _Z17testOperationsGPUI15HIP_vector_typeIxLj2EES0_IxLj1EEEvPT_S4_i.num_named_barrier, 0
	.set _Z17testOperationsGPUI15HIP_vector_typeIxLj2EES0_IxLj1EEEvPT_S4_i.private_seg_size, 0
	.set _Z17testOperationsGPUI15HIP_vector_typeIxLj2EES0_IxLj1EEEvPT_S4_i.uses_vcc, 1
	.set _Z17testOperationsGPUI15HIP_vector_typeIxLj2EES0_IxLj1EEEvPT_S4_i.uses_flat_scratch, 0
	.set _Z17testOperationsGPUI15HIP_vector_typeIxLj2EES0_IxLj1EEEvPT_S4_i.has_dyn_sized_stack, 0
	.set _Z17testOperationsGPUI15HIP_vector_typeIxLj2EES0_IxLj1EEEvPT_S4_i.has_recursion, 0
	.set _Z17testOperationsGPUI15HIP_vector_typeIxLj2EES0_IxLj1EEEvPT_S4_i.has_indirect_call, 0
	.section	.AMDGPU.csdata,"",@progbits
; Kernel info:
; codeLenInByte = 148
; TotalNumSgprs: 10
; NumVgprs: 5
; ScratchSize: 0
; MemoryBound: 1
; FloatMode: 240
; IeeeMode: 1
; LDSByteSize: 0 bytes/workgroup (compile time only)
; SGPRBlocks: 1
; VGPRBlocks: 1
; NumSGPRsForWavesPerEU: 10
; NumVGPRsForWavesPerEU: 5
; Occupancy: 10
; WaveLimiterHint : 1
; COMPUTE_PGM_RSRC2:SCRATCH_EN: 0
; COMPUTE_PGM_RSRC2:USER_SGPR: 6
; COMPUTE_PGM_RSRC2:TRAP_HANDLER: 0
; COMPUTE_PGM_RSRC2:TGID_X_EN: 1
; COMPUTE_PGM_RSRC2:TGID_Y_EN: 0
; COMPUTE_PGM_RSRC2:TGID_Z_EN: 0
; COMPUTE_PGM_RSRC2:TIDIG_COMP_CNT: 0
	.section	.text._Z17testOperationsGPUI15HIP_vector_typeIxLj3EES0_IxLj1EEEvPT_S4_i,"axG",@progbits,_Z17testOperationsGPUI15HIP_vector_typeIxLj3EES0_IxLj1EEEvPT_S4_i,comdat
	.protected	_Z17testOperationsGPUI15HIP_vector_typeIxLj3EES0_IxLj1EEEvPT_S4_i ; -- Begin function _Z17testOperationsGPUI15HIP_vector_typeIxLj3EES0_IxLj1EEEvPT_S4_i
	.globl	_Z17testOperationsGPUI15HIP_vector_typeIxLj3EES0_IxLj1EEEvPT_S4_i
	.p2align	8
	.type	_Z17testOperationsGPUI15HIP_vector_typeIxLj3EES0_IxLj1EEEvPT_S4_i,@function
_Z17testOperationsGPUI15HIP_vector_typeIxLj3EES0_IxLj1EEEvPT_S4_i: ; @_Z17testOperationsGPUI15HIP_vector_typeIxLj3EES0_IxLj1EEEvPT_S4_i
; %bb.0:
	s_load_dword s0, s[4:5], 0x10
	s_waitcnt lgkmcnt(0)
	v_cmp_ge_i32_e32 vcc, s0, v0
	s_and_saveexec_b64 s[0:1], vcc
	s_cbranch_execz .LBB22_8
; %bb.1:
	s_load_dwordx4 s[0:3], s[4:5], 0x0
	s_waitcnt lgkmcnt(0)
	v_mov_b32_e32 v3, s2
	v_mov_b32_e32 v4, s3
	;; [unrolled: 1-line block ×4, first 2 shown]
	v_mad_u64_u32 v[6:7], s[0:1], v0, 24, v[3:4]
	v_mad_u64_u32 v[4:5], s[0:1], v0, 24, v[1:2]
	global_load_dwordx2 v[0:1], v[6:7], off
	global_load_dwordx2 v[2:3], v[4:5], off
	s_waitcnt vmcnt(0)
	v_add_co_u32_e32 v0, vcc, v0, v2
	v_addc_co_u32_e32 v1, vcc, v1, v3, vcc
	v_add_co_u32_e32 v0, vcc, 1, v0
	v_addc_co_u32_e32 v1, vcc, 0, v1, vcc
	global_store_dwordx2 v[4:5], v[0:1], off
	global_load_dwordx2 v[2:3], v[6:7], off
	s_waitcnt vmcnt(0)
	v_add_co_u32_e32 v0, vcc, 1, v2
	v_addc_co_u32_e32 v1, vcc, 0, v3, vcc
	global_store_dwordx2 v[4:5], v[0:1], off offset:8
	global_load_dwordx2 v[8:9], v[6:7], off offset:8
	s_waitcnt vmcnt(0)
	v_cmp_lt_i64_e32 vcc, 0, v[8:9]
	global_store_dwordx2 v[6:7], v[0:1], off
	global_store_dwordx2 v[4:5], v[8:9], off
	s_and_saveexec_b64 s[2:3], vcc
	s_cbranch_execz .LBB22_7
; %bb.2:
	global_load_dwordx2 v[0:1], v[6:7], off
	v_mov_b32_e32 v10, 0
	s_waitcnt vmcnt(0)
	v_or_b32_e32 v11, v1, v9
	v_cmp_ne_u64_e32 vcc, 0, v[10:11]
                                        ; implicit-def: $vgpr10_vgpr11
	s_and_saveexec_b64 s[0:1], vcc
	s_xor_b64 s[4:5], exec, s[0:1]
	s_cbranch_execz .LBB22_4
; %bb.3:
	v_ashrrev_i32_e32 v15, 31, v9
	v_add_co_u32_e32 v8, vcc, v8, v15
	v_addc_co_u32_e32 v9, vcc, v9, v15, vcc
	v_xor_b32_e32 v16, v9, v15
	v_xor_b32_e32 v17, v8, v15
	v_cvt_f32_u32_e32 v8, v17
	v_cvt_f32_u32_e32 v9, v16
	v_sub_co_u32_e32 v13, vcc, 0, v17
	v_subb_co_u32_e32 v14, vcc, 0, v16, vcc
	v_madmk_f32 v8, v9, 0x4f800000, v8
	v_rcp_f32_e32 v8, v8
	v_mul_f32_e32 v8, 0x5f7ffffc, v8
	v_mul_f32_e32 v9, 0x2f800000, v8
	v_trunc_f32_e32 v9, v9
	v_madmk_f32 v8, v9, 0xcf800000, v8
	v_cvt_u32_f32_e32 v12, v8
	v_cvt_u32_f32_e32 v18, v9
	v_mul_lo_u32 v10, v14, v12
	v_mad_u64_u32 v[8:9], s[0:1], v13, v12, 0
	v_mul_lo_u32 v11, v13, v18
	v_mul_hi_u32 v19, v12, v8
	v_add3_u32 v11, v9, v11, v10
	v_mad_u64_u32 v[9:10], s[0:1], v12, v11, 0
	v_add_co_u32_e32 v19, vcc, v19, v9
	v_mad_u64_u32 v[8:9], s[0:1], v18, v8, 0
	v_addc_co_u32_e32 v20, vcc, 0, v10, vcc
	v_mad_u64_u32 v[10:11], s[0:1], v18, v11, 0
	v_add_co_u32_e32 v8, vcc, v19, v8
	v_addc_co_u32_e32 v8, vcc, v20, v9, vcc
	v_addc_co_u32_e32 v9, vcc, 0, v11, vcc
	v_add_co_u32_e32 v8, vcc, v8, v10
	v_addc_co_u32_e32 v9, vcc, 0, v9, vcc
	v_add_co_u32_e32 v19, vcc, v12, v8
	v_addc_co_u32_e32 v18, vcc, v18, v9, vcc
	v_mul_lo_u32 v10, v13, v18
	v_mul_lo_u32 v11, v14, v19
	v_mad_u64_u32 v[8:9], s[0:1], v13, v19, 0
	v_add3_u32 v11, v9, v10, v11
	v_mad_u64_u32 v[9:10], s[0:1], v18, v11, 0
	v_mad_u64_u32 v[11:12], s[0:1], v19, v11, 0
	v_mul_hi_u32 v20, v19, v8
	v_mad_u64_u32 v[13:14], s[0:1], v18, v8, 0
	v_add_co_u32_e32 v8, vcc, v20, v11
	v_addc_co_u32_e32 v11, vcc, 0, v12, vcc
	v_add_co_u32_e32 v8, vcc, v8, v13
	v_addc_co_u32_e32 v8, vcc, v11, v14, vcc
	v_addc_co_u32_e32 v10, vcc, 0, v10, vcc
	v_add_co_u32_e32 v8, vcc, v8, v9
	v_addc_co_u32_e32 v9, vcc, 0, v10, vcc
	v_add_co_u32_e32 v8, vcc, v19, v8
	v_addc_co_u32_e32 v9, vcc, v18, v9, vcc
	v_ashrrev_i32_e32 v10, 31, v1
	v_add_co_u32_e32 v0, vcc, v0, v10
	v_xor_b32_e32 v12, v0, v10
	v_addc_co_u32_e32 v11, vcc, v1, v10, vcc
	v_mad_u64_u32 v[0:1], s[0:1], v12, v9, 0
	v_mul_hi_u32 v13, v12, v8
	v_xor_b32_e32 v11, v11, v10
	v_add_co_u32_e32 v13, vcc, v13, v0
	v_addc_co_u32_e32 v14, vcc, 0, v1, vcc
	v_mad_u64_u32 v[0:1], s[0:1], v11, v8, 0
	v_mad_u64_u32 v[8:9], s[0:1], v11, v9, 0
	v_add_co_u32_e32 v0, vcc, v13, v0
	v_addc_co_u32_e32 v0, vcc, v14, v1, vcc
	v_addc_co_u32_e32 v1, vcc, 0, v9, vcc
	v_add_co_u32_e32 v8, vcc, v0, v8
	v_addc_co_u32_e32 v9, vcc, 0, v1, vcc
	v_mul_lo_u32 v13, v16, v8
	v_mul_lo_u32 v14, v17, v9
	v_mad_u64_u32 v[0:1], s[0:1], v17, v8, 0
	v_add3_u32 v1, v1, v14, v13
	v_sub_u32_e32 v13, v11, v1
	v_sub_co_u32_e32 v0, vcc, v12, v0
	v_subb_co_u32_e64 v12, s[0:1], v13, v16, vcc
	v_sub_co_u32_e64 v13, s[0:1], v0, v17
	v_subbrev_co_u32_e64 v12, s[0:1], 0, v12, s[0:1]
	v_cmp_ge_u32_e64 s[0:1], v12, v16
	v_cndmask_b32_e64 v14, 0, -1, s[0:1]
	v_cmp_ge_u32_e64 s[0:1], v13, v17
	v_cndmask_b32_e64 v13, 0, -1, s[0:1]
	v_cmp_eq_u32_e64 s[0:1], v12, v16
	v_cndmask_b32_e64 v12, v14, v13, s[0:1]
	v_add_co_u32_e64 v13, s[0:1], 2, v8
	v_subb_co_u32_e32 v1, vcc, v11, v1, vcc
	v_addc_co_u32_e64 v14, s[0:1], 0, v9, s[0:1]
	v_cmp_ge_u32_e32 vcc, v1, v16
	v_add_co_u32_e64 v18, s[0:1], 1, v8
	v_cndmask_b32_e64 v11, 0, -1, vcc
	v_cmp_ge_u32_e32 vcc, v0, v17
	v_addc_co_u32_e64 v19, s[0:1], 0, v9, s[0:1]
	v_cndmask_b32_e64 v0, 0, -1, vcc
	v_cmp_eq_u32_e32 vcc, v1, v16
	v_cmp_ne_u32_e64 s[0:1], 0, v12
	v_cndmask_b32_e32 v0, v11, v0, vcc
	v_cmp_ne_u32_e32 vcc, 0, v0
	v_cndmask_b32_e64 v1, v18, v13, s[0:1]
	v_cndmask_b32_e64 v12, v19, v14, s[0:1]
	v_cndmask_b32_e32 v1, v8, v1, vcc
	v_xor_b32_e32 v8, v10, v15
	v_cndmask_b32_e32 v0, v9, v12, vcc
	v_xor_b32_e32 v1, v1, v8
	v_xor_b32_e32 v0, v0, v8
	v_sub_co_u32_e32 v10, vcc, v1, v8
	v_subb_co_u32_e32 v11, vcc, v0, v8, vcc
                                        ; implicit-def: $vgpr8_vgpr9
                                        ; implicit-def: $vgpr0_vgpr1
.LBB22_4:
	s_andn2_saveexec_b64 s[0:1], s[4:5]
	s_cbranch_execz .LBB22_6
; %bb.5:
	v_cvt_f32_u32_e32 v1, v8
	v_sub_u32_e32 v9, 0, v8
	v_mov_b32_e32 v11, 0
	v_rcp_iflag_f32_e32 v1, v1
	v_mul_f32_e32 v1, 0x4f7ffffe, v1
	v_cvt_u32_f32_e32 v1, v1
	v_mul_lo_u32 v9, v9, v1
	v_mul_hi_u32 v9, v1, v9
	v_add_u32_e32 v1, v1, v9
	v_mul_hi_u32 v1, v0, v1
	v_mul_lo_u32 v9, v1, v8
	v_add_u32_e32 v10, 1, v1
	v_sub_u32_e32 v0, v0, v9
	v_sub_u32_e32 v9, v0, v8
	v_cmp_ge_u32_e32 vcc, v0, v8
	v_cndmask_b32_e32 v0, v0, v9, vcc
	v_cndmask_b32_e32 v1, v1, v10, vcc
	v_add_u32_e32 v9, 1, v1
	v_cmp_ge_u32_e32 vcc, v0, v8
	v_cndmask_b32_e32 v10, v1, v9, vcc
.LBB22_6:
	s_or_b64 exec, exec, s[0:1]
	global_store_dwordx2 v[6:7], v[10:11], off
	global_load_dwordx2 v[8:9], v[4:5], off
.LBB22_7:
	s_or_b64 exec, exec, s[2:3]
	global_load_dwordx2 v[0:1], v[6:7], off offset:16
	s_waitcnt vmcnt(0)
	v_mul_lo_u32 v6, v1, v8
	v_mul_lo_u32 v7, v0, v9
	v_mad_u64_u32 v[0:1], s[0:1], v0, v8, 0
	v_add3_u32 v1, v1, v7, v6
	global_store_dwordx4 v[4:5], v[0:3], off
.LBB22_8:
	s_endpgm
	.section	.rodata,"a",@progbits
	.p2align	6, 0x0
	.amdhsa_kernel _Z17testOperationsGPUI15HIP_vector_typeIxLj3EES0_IxLj1EEEvPT_S4_i
		.amdhsa_group_segment_fixed_size 0
		.amdhsa_private_segment_fixed_size 0
		.amdhsa_kernarg_size 20
		.amdhsa_user_sgpr_count 6
		.amdhsa_user_sgpr_private_segment_buffer 1
		.amdhsa_user_sgpr_dispatch_ptr 0
		.amdhsa_user_sgpr_queue_ptr 0
		.amdhsa_user_sgpr_kernarg_segment_ptr 1
		.amdhsa_user_sgpr_dispatch_id 0
		.amdhsa_user_sgpr_flat_scratch_init 0
		.amdhsa_user_sgpr_private_segment_size 0
		.amdhsa_uses_dynamic_stack 0
		.amdhsa_system_sgpr_private_segment_wavefront_offset 0
		.amdhsa_system_sgpr_workgroup_id_x 1
		.amdhsa_system_sgpr_workgroup_id_y 0
		.amdhsa_system_sgpr_workgroup_id_z 0
		.amdhsa_system_sgpr_workgroup_info 0
		.amdhsa_system_vgpr_workitem_id 0
		.amdhsa_next_free_vgpr 21
		.amdhsa_next_free_sgpr 6
		.amdhsa_reserve_vcc 1
		.amdhsa_reserve_flat_scratch 0
		.amdhsa_float_round_mode_32 0
		.amdhsa_float_round_mode_16_64 0
		.amdhsa_float_denorm_mode_32 3
		.amdhsa_float_denorm_mode_16_64 3
		.amdhsa_dx10_clamp 1
		.amdhsa_ieee_mode 1
		.amdhsa_fp16_overflow 0
		.amdhsa_exception_fp_ieee_invalid_op 0
		.amdhsa_exception_fp_denorm_src 0
		.amdhsa_exception_fp_ieee_div_zero 0
		.amdhsa_exception_fp_ieee_overflow 0
		.amdhsa_exception_fp_ieee_underflow 0
		.amdhsa_exception_fp_ieee_inexact 0
		.amdhsa_exception_int_div_zero 0
	.end_amdhsa_kernel
	.section	.text._Z17testOperationsGPUI15HIP_vector_typeIxLj3EES0_IxLj1EEEvPT_S4_i,"axG",@progbits,_Z17testOperationsGPUI15HIP_vector_typeIxLj3EES0_IxLj1EEEvPT_S4_i,comdat
.Lfunc_end22:
	.size	_Z17testOperationsGPUI15HIP_vector_typeIxLj3EES0_IxLj1EEEvPT_S4_i, .Lfunc_end22-_Z17testOperationsGPUI15HIP_vector_typeIxLj3EES0_IxLj1EEEvPT_S4_i
                                        ; -- End function
	.set _Z17testOperationsGPUI15HIP_vector_typeIxLj3EES0_IxLj1EEEvPT_S4_i.num_vgpr, 21
	.set _Z17testOperationsGPUI15HIP_vector_typeIxLj3EES0_IxLj1EEEvPT_S4_i.num_agpr, 0
	.set _Z17testOperationsGPUI15HIP_vector_typeIxLj3EES0_IxLj1EEEvPT_S4_i.numbered_sgpr, 6
	.set _Z17testOperationsGPUI15HIP_vector_typeIxLj3EES0_IxLj1EEEvPT_S4_i.num_named_barrier, 0
	.set _Z17testOperationsGPUI15HIP_vector_typeIxLj3EES0_IxLj1EEEvPT_S4_i.private_seg_size, 0
	.set _Z17testOperationsGPUI15HIP_vector_typeIxLj3EES0_IxLj1EEEvPT_S4_i.uses_vcc, 1
	.set _Z17testOperationsGPUI15HIP_vector_typeIxLj3EES0_IxLj1EEEvPT_S4_i.uses_flat_scratch, 0
	.set _Z17testOperationsGPUI15HIP_vector_typeIxLj3EES0_IxLj1EEEvPT_S4_i.has_dyn_sized_stack, 0
	.set _Z17testOperationsGPUI15HIP_vector_typeIxLj3EES0_IxLj1EEEvPT_S4_i.has_recursion, 0
	.set _Z17testOperationsGPUI15HIP_vector_typeIxLj3EES0_IxLj1EEEvPT_S4_i.has_indirect_call, 0
	.section	.AMDGPU.csdata,"",@progbits
; Kernel info:
; codeLenInByte = 1012
; TotalNumSgprs: 10
; NumVgprs: 21
; ScratchSize: 0
; MemoryBound: 0
; FloatMode: 240
; IeeeMode: 1
; LDSByteSize: 0 bytes/workgroup (compile time only)
; SGPRBlocks: 1
; VGPRBlocks: 5
; NumSGPRsForWavesPerEU: 10
; NumVGPRsForWavesPerEU: 21
; Occupancy: 10
; WaveLimiterHint : 0
; COMPUTE_PGM_RSRC2:SCRATCH_EN: 0
; COMPUTE_PGM_RSRC2:USER_SGPR: 6
; COMPUTE_PGM_RSRC2:TRAP_HANDLER: 0
; COMPUTE_PGM_RSRC2:TGID_X_EN: 1
; COMPUTE_PGM_RSRC2:TGID_Y_EN: 0
; COMPUTE_PGM_RSRC2:TGID_Z_EN: 0
; COMPUTE_PGM_RSRC2:TIDIG_COMP_CNT: 0
	.section	.text._Z17testOperationsGPUI15HIP_vector_typeIxLj4EES0_IxLj1EEEvPT_S4_i,"axG",@progbits,_Z17testOperationsGPUI15HIP_vector_typeIxLj4EES0_IxLj1EEEvPT_S4_i,comdat
	.protected	_Z17testOperationsGPUI15HIP_vector_typeIxLj4EES0_IxLj1EEEvPT_S4_i ; -- Begin function _Z17testOperationsGPUI15HIP_vector_typeIxLj4EES0_IxLj1EEEvPT_S4_i
	.globl	_Z17testOperationsGPUI15HIP_vector_typeIxLj4EES0_IxLj1EEEvPT_S4_i
	.p2align	8
	.type	_Z17testOperationsGPUI15HIP_vector_typeIxLj4EES0_IxLj1EEEvPT_S4_i,@function
_Z17testOperationsGPUI15HIP_vector_typeIxLj4EES0_IxLj1EEEvPT_S4_i: ; @_Z17testOperationsGPUI15HIP_vector_typeIxLj4EES0_IxLj1EEEvPT_S4_i
; %bb.0:
	s_load_dword s0, s[4:5], 0x10
	s_waitcnt lgkmcnt(0)
	v_cmp_ge_i32_e32 vcc, s0, v0
	s_and_saveexec_b64 s[0:1], vcc
	s_cbranch_execz .LBB23_8
; %bb.1:
	s_load_dwordx4 s[0:3], s[4:5], 0x0
	v_lshlrev_b32_e32 v11, 5, v0
	v_mov_b32_e32 v10, 0
	s_waitcnt lgkmcnt(0)
	global_load_dwordx2 v[0:1], v11, s[2:3]
	global_load_dwordx2 v[2:3], v11, s[0:1]
	v_mov_b32_e32 v5, s1
	v_mov_b32_e32 v7, s3
	s_waitcnt vmcnt(0)
	v_add_co_u32_e32 v0, vcc, v0, v2
	v_addc_co_u32_e32 v1, vcc, v1, v3, vcc
	v_add_co_u32_e32 v0, vcc, 1, v0
	v_addc_co_u32_e32 v1, vcc, 0, v1, vcc
	global_store_dwordx2 v11, v[0:1], s[0:1]
	global_load_dwordx2 v[2:3], v11, s[2:3]
	s_waitcnt vmcnt(0)
	v_add_co_u32_e32 v0, vcc, 1, v2
	v_addc_co_u32_e32 v1, vcc, 0, v3, vcc
	global_store_dwordx2 v11, v[0:1], s[0:1] offset:8
	global_load_dwordx2 v[8:9], v11, s[2:3] offset:8
	v_add_co_u32_e32 v4, vcc, s0, v11
	v_addc_co_u32_e32 v5, vcc, 0, v5, vcc
	v_add_co_u32_e32 v6, vcc, s2, v11
	v_addc_co_u32_e32 v7, vcc, 0, v7, vcc
	global_store_dwordx2 v11, v[0:1], s[2:3]
	s_waitcnt vmcnt(1)
	v_cmp_lt_i64_e32 vcc, 0, v[8:9]
	global_store_dwordx2 v11, v[8:9], s[0:1]
	s_and_saveexec_b64 s[2:3], vcc
	s_cbranch_execz .LBB23_7
; %bb.2:
	global_load_dwordx2 v[0:1], v[6:7], off
	s_waitcnt vmcnt(0)
	v_or_b32_e32 v11, v1, v9
	v_cmp_ne_u64_e32 vcc, 0, v[10:11]
                                        ; implicit-def: $vgpr10_vgpr11
	s_and_saveexec_b64 s[0:1], vcc
	s_xor_b64 s[4:5], exec, s[0:1]
	s_cbranch_execz .LBB23_4
; %bb.3:
	v_ashrrev_i32_e32 v15, 31, v9
	v_add_co_u32_e32 v8, vcc, v8, v15
	v_addc_co_u32_e32 v9, vcc, v9, v15, vcc
	v_xor_b32_e32 v16, v9, v15
	v_xor_b32_e32 v17, v8, v15
	v_cvt_f32_u32_e32 v8, v17
	v_cvt_f32_u32_e32 v9, v16
	v_sub_co_u32_e32 v13, vcc, 0, v17
	v_subb_co_u32_e32 v14, vcc, 0, v16, vcc
	v_madmk_f32 v8, v9, 0x4f800000, v8
	v_rcp_f32_e32 v8, v8
	v_mul_f32_e32 v8, 0x5f7ffffc, v8
	v_mul_f32_e32 v9, 0x2f800000, v8
	v_trunc_f32_e32 v9, v9
	v_madmk_f32 v8, v9, 0xcf800000, v8
	v_cvt_u32_f32_e32 v12, v8
	v_cvt_u32_f32_e32 v18, v9
	v_mul_lo_u32 v10, v14, v12
	v_mad_u64_u32 v[8:9], s[0:1], v13, v12, 0
	v_mul_lo_u32 v11, v13, v18
	v_mul_hi_u32 v19, v12, v8
	v_add3_u32 v11, v9, v11, v10
	v_mad_u64_u32 v[9:10], s[0:1], v12, v11, 0
	v_add_co_u32_e32 v19, vcc, v19, v9
	v_mad_u64_u32 v[8:9], s[0:1], v18, v8, 0
	v_addc_co_u32_e32 v20, vcc, 0, v10, vcc
	v_mad_u64_u32 v[10:11], s[0:1], v18, v11, 0
	v_add_co_u32_e32 v8, vcc, v19, v8
	v_addc_co_u32_e32 v8, vcc, v20, v9, vcc
	v_addc_co_u32_e32 v9, vcc, 0, v11, vcc
	v_add_co_u32_e32 v8, vcc, v8, v10
	v_addc_co_u32_e32 v9, vcc, 0, v9, vcc
	v_add_co_u32_e32 v19, vcc, v12, v8
	v_addc_co_u32_e32 v18, vcc, v18, v9, vcc
	v_mul_lo_u32 v10, v13, v18
	v_mul_lo_u32 v11, v14, v19
	v_mad_u64_u32 v[8:9], s[0:1], v13, v19, 0
	v_add3_u32 v11, v9, v10, v11
	v_mad_u64_u32 v[9:10], s[0:1], v18, v11, 0
	v_mad_u64_u32 v[11:12], s[0:1], v19, v11, 0
	v_mul_hi_u32 v20, v19, v8
	v_mad_u64_u32 v[13:14], s[0:1], v18, v8, 0
	v_add_co_u32_e32 v8, vcc, v20, v11
	v_addc_co_u32_e32 v11, vcc, 0, v12, vcc
	v_add_co_u32_e32 v8, vcc, v8, v13
	v_addc_co_u32_e32 v8, vcc, v11, v14, vcc
	v_addc_co_u32_e32 v10, vcc, 0, v10, vcc
	v_add_co_u32_e32 v8, vcc, v8, v9
	v_addc_co_u32_e32 v9, vcc, 0, v10, vcc
	v_add_co_u32_e32 v8, vcc, v19, v8
	v_addc_co_u32_e32 v9, vcc, v18, v9, vcc
	v_ashrrev_i32_e32 v10, 31, v1
	v_add_co_u32_e32 v0, vcc, v0, v10
	v_xor_b32_e32 v12, v0, v10
	v_addc_co_u32_e32 v11, vcc, v1, v10, vcc
	v_mad_u64_u32 v[0:1], s[0:1], v12, v9, 0
	v_mul_hi_u32 v13, v12, v8
	v_xor_b32_e32 v11, v11, v10
	v_add_co_u32_e32 v13, vcc, v13, v0
	v_addc_co_u32_e32 v14, vcc, 0, v1, vcc
	v_mad_u64_u32 v[0:1], s[0:1], v11, v8, 0
	v_mad_u64_u32 v[8:9], s[0:1], v11, v9, 0
	v_add_co_u32_e32 v0, vcc, v13, v0
	v_addc_co_u32_e32 v0, vcc, v14, v1, vcc
	v_addc_co_u32_e32 v1, vcc, 0, v9, vcc
	v_add_co_u32_e32 v8, vcc, v0, v8
	v_addc_co_u32_e32 v9, vcc, 0, v1, vcc
	v_mul_lo_u32 v13, v16, v8
	v_mul_lo_u32 v14, v17, v9
	v_mad_u64_u32 v[0:1], s[0:1], v17, v8, 0
	v_add3_u32 v1, v1, v14, v13
	v_sub_u32_e32 v13, v11, v1
	v_sub_co_u32_e32 v0, vcc, v12, v0
	v_subb_co_u32_e64 v12, s[0:1], v13, v16, vcc
	v_sub_co_u32_e64 v13, s[0:1], v0, v17
	v_subbrev_co_u32_e64 v12, s[0:1], 0, v12, s[0:1]
	v_cmp_ge_u32_e64 s[0:1], v12, v16
	v_cndmask_b32_e64 v14, 0, -1, s[0:1]
	v_cmp_ge_u32_e64 s[0:1], v13, v17
	v_cndmask_b32_e64 v13, 0, -1, s[0:1]
	v_cmp_eq_u32_e64 s[0:1], v12, v16
	v_cndmask_b32_e64 v12, v14, v13, s[0:1]
	v_add_co_u32_e64 v13, s[0:1], 2, v8
	v_subb_co_u32_e32 v1, vcc, v11, v1, vcc
	v_addc_co_u32_e64 v14, s[0:1], 0, v9, s[0:1]
	v_cmp_ge_u32_e32 vcc, v1, v16
	v_add_co_u32_e64 v18, s[0:1], 1, v8
	v_cndmask_b32_e64 v11, 0, -1, vcc
	v_cmp_ge_u32_e32 vcc, v0, v17
	v_addc_co_u32_e64 v19, s[0:1], 0, v9, s[0:1]
	v_cndmask_b32_e64 v0, 0, -1, vcc
	v_cmp_eq_u32_e32 vcc, v1, v16
	v_cmp_ne_u32_e64 s[0:1], 0, v12
	v_cndmask_b32_e32 v0, v11, v0, vcc
	v_cmp_ne_u32_e32 vcc, 0, v0
	v_cndmask_b32_e64 v1, v18, v13, s[0:1]
	v_cndmask_b32_e64 v12, v19, v14, s[0:1]
	v_cndmask_b32_e32 v1, v8, v1, vcc
	v_xor_b32_e32 v8, v10, v15
	v_cndmask_b32_e32 v0, v9, v12, vcc
	v_xor_b32_e32 v1, v1, v8
	v_xor_b32_e32 v0, v0, v8
	v_sub_co_u32_e32 v10, vcc, v1, v8
	v_subb_co_u32_e32 v11, vcc, v0, v8, vcc
                                        ; implicit-def: $vgpr8_vgpr9
                                        ; implicit-def: $vgpr0_vgpr1
.LBB23_4:
	s_andn2_saveexec_b64 s[0:1], s[4:5]
	s_cbranch_execz .LBB23_6
; %bb.5:
	v_cvt_f32_u32_e32 v1, v8
	v_sub_u32_e32 v9, 0, v8
	v_mov_b32_e32 v11, 0
	v_rcp_iflag_f32_e32 v1, v1
	v_mul_f32_e32 v1, 0x4f7ffffe, v1
	v_cvt_u32_f32_e32 v1, v1
	v_mul_lo_u32 v9, v9, v1
	v_mul_hi_u32 v9, v1, v9
	v_add_u32_e32 v1, v1, v9
	v_mul_hi_u32 v1, v0, v1
	v_mul_lo_u32 v9, v1, v8
	v_add_u32_e32 v10, 1, v1
	v_sub_u32_e32 v0, v0, v9
	v_sub_u32_e32 v9, v0, v8
	v_cmp_ge_u32_e32 vcc, v0, v8
	v_cndmask_b32_e32 v0, v0, v9, vcc
	v_cndmask_b32_e32 v1, v1, v10, vcc
	v_add_u32_e32 v9, 1, v1
	v_cmp_ge_u32_e32 vcc, v0, v8
	v_cndmask_b32_e32 v10, v1, v9, vcc
.LBB23_6:
	s_or_b64 exec, exec, s[0:1]
	global_store_dwordx2 v[6:7], v[10:11], off
	global_load_dwordx2 v[8:9], v[4:5], off
.LBB23_7:
	s_or_b64 exec, exec, s[2:3]
	global_load_dwordx2 v[0:1], v[6:7], off offset:16
	s_waitcnt vmcnt(0)
	v_mul_lo_u32 v10, v1, v8
	v_mul_lo_u32 v9, v0, v9
	v_mad_u64_u32 v[0:1], s[0:1], v0, v8, 0
	v_add3_u32 v1, v1, v9, v10
	global_store_dwordx4 v[4:5], v[0:3], off
	global_store_dwordx2 v[6:7], v[0:1], off offset:24
	global_load_dwordx2 v[0:1], v[6:7], off offset:8
	s_nop 0
	global_load_dwordx2 v[2:3], v[4:5], off offset:24
	s_waitcnt vmcnt(0)
	v_sub_co_u32_e32 v0, vcc, v2, v0
	v_subb_co_u32_e32 v1, vcc, v3, v1, vcc
	global_store_dwordx2 v[4:5], v[0:1], off offset:24
.LBB23_8:
	s_endpgm
	.section	.rodata,"a",@progbits
	.p2align	6, 0x0
	.amdhsa_kernel _Z17testOperationsGPUI15HIP_vector_typeIxLj4EES0_IxLj1EEEvPT_S4_i
		.amdhsa_group_segment_fixed_size 0
		.amdhsa_private_segment_fixed_size 0
		.amdhsa_kernarg_size 20
		.amdhsa_user_sgpr_count 6
		.amdhsa_user_sgpr_private_segment_buffer 1
		.amdhsa_user_sgpr_dispatch_ptr 0
		.amdhsa_user_sgpr_queue_ptr 0
		.amdhsa_user_sgpr_kernarg_segment_ptr 1
		.amdhsa_user_sgpr_dispatch_id 0
		.amdhsa_user_sgpr_flat_scratch_init 0
		.amdhsa_user_sgpr_private_segment_size 0
		.amdhsa_uses_dynamic_stack 0
		.amdhsa_system_sgpr_private_segment_wavefront_offset 0
		.amdhsa_system_sgpr_workgroup_id_x 1
		.amdhsa_system_sgpr_workgroup_id_y 0
		.amdhsa_system_sgpr_workgroup_id_z 0
		.amdhsa_system_sgpr_workgroup_info 0
		.amdhsa_system_vgpr_workitem_id 0
		.amdhsa_next_free_vgpr 21
		.amdhsa_next_free_sgpr 6
		.amdhsa_reserve_vcc 1
		.amdhsa_reserve_flat_scratch 0
		.amdhsa_float_round_mode_32 0
		.amdhsa_float_round_mode_16_64 0
		.amdhsa_float_denorm_mode_32 3
		.amdhsa_float_denorm_mode_16_64 3
		.amdhsa_dx10_clamp 1
		.amdhsa_ieee_mode 1
		.amdhsa_fp16_overflow 0
		.amdhsa_exception_fp_ieee_invalid_op 0
		.amdhsa_exception_fp_denorm_src 0
		.amdhsa_exception_fp_ieee_div_zero 0
		.amdhsa_exception_fp_ieee_overflow 0
		.amdhsa_exception_fp_ieee_underflow 0
		.amdhsa_exception_fp_ieee_inexact 0
		.amdhsa_exception_int_div_zero 0
	.end_amdhsa_kernel
	.section	.text._Z17testOperationsGPUI15HIP_vector_typeIxLj4EES0_IxLj1EEEvPT_S4_i,"axG",@progbits,_Z17testOperationsGPUI15HIP_vector_typeIxLj4EES0_IxLj1EEEvPT_S4_i,comdat
.Lfunc_end23:
	.size	_Z17testOperationsGPUI15HIP_vector_typeIxLj4EES0_IxLj1EEEvPT_S4_i, .Lfunc_end23-_Z17testOperationsGPUI15HIP_vector_typeIxLj4EES0_IxLj1EEEvPT_S4_i
                                        ; -- End function
	.set _Z17testOperationsGPUI15HIP_vector_typeIxLj4EES0_IxLj1EEEvPT_S4_i.num_vgpr, 21
	.set _Z17testOperationsGPUI15HIP_vector_typeIxLj4EES0_IxLj1EEEvPT_S4_i.num_agpr, 0
	.set _Z17testOperationsGPUI15HIP_vector_typeIxLj4EES0_IxLj1EEEvPT_S4_i.numbered_sgpr, 6
	.set _Z17testOperationsGPUI15HIP_vector_typeIxLj4EES0_IxLj1EEEvPT_S4_i.num_named_barrier, 0
	.set _Z17testOperationsGPUI15HIP_vector_typeIxLj4EES0_IxLj1EEEvPT_S4_i.private_seg_size, 0
	.set _Z17testOperationsGPUI15HIP_vector_typeIxLj4EES0_IxLj1EEEvPT_S4_i.uses_vcc, 1
	.set _Z17testOperationsGPUI15HIP_vector_typeIxLj4EES0_IxLj1EEEvPT_S4_i.uses_flat_scratch, 0
	.set _Z17testOperationsGPUI15HIP_vector_typeIxLj4EES0_IxLj1EEEvPT_S4_i.has_dyn_sized_stack, 0
	.set _Z17testOperationsGPUI15HIP_vector_typeIxLj4EES0_IxLj1EEEvPT_S4_i.has_recursion, 0
	.set _Z17testOperationsGPUI15HIP_vector_typeIxLj4EES0_IxLj1EEEvPT_S4_i.has_indirect_call, 0
	.section	.AMDGPU.csdata,"",@progbits
; Kernel info:
; codeLenInByte = 1056
; TotalNumSgprs: 10
; NumVgprs: 21
; ScratchSize: 0
; MemoryBound: 0
; FloatMode: 240
; IeeeMode: 1
; LDSByteSize: 0 bytes/workgroup (compile time only)
; SGPRBlocks: 1
; VGPRBlocks: 5
; NumSGPRsForWavesPerEU: 10
; NumVGPRsForWavesPerEU: 21
; Occupancy: 10
; WaveLimiterHint : 0
; COMPUTE_PGM_RSRC2:SCRATCH_EN: 0
; COMPUTE_PGM_RSRC2:USER_SGPR: 6
; COMPUTE_PGM_RSRC2:TRAP_HANDLER: 0
; COMPUTE_PGM_RSRC2:TGID_X_EN: 1
; COMPUTE_PGM_RSRC2:TGID_Y_EN: 0
; COMPUTE_PGM_RSRC2:TGID_Z_EN: 0
; COMPUTE_PGM_RSRC2:TIDIG_COMP_CNT: 0
	.section	.text._Z17testOperationsGPUI15HIP_vector_typeIsLj1EES1_EvPT_S3_i,"axG",@progbits,_Z17testOperationsGPUI15HIP_vector_typeIsLj1EES1_EvPT_S3_i,comdat
	.protected	_Z17testOperationsGPUI15HIP_vector_typeIsLj1EES1_EvPT_S3_i ; -- Begin function _Z17testOperationsGPUI15HIP_vector_typeIsLj1EES1_EvPT_S3_i
	.globl	_Z17testOperationsGPUI15HIP_vector_typeIsLj1EES1_EvPT_S3_i
	.p2align	8
	.type	_Z17testOperationsGPUI15HIP_vector_typeIsLj1EES1_EvPT_S3_i,@function
_Z17testOperationsGPUI15HIP_vector_typeIsLj1EES1_EvPT_S3_i: ; @_Z17testOperationsGPUI15HIP_vector_typeIsLj1EES1_EvPT_S3_i
; %bb.0:
	s_load_dword s0, s[4:5], 0x10
	s_waitcnt lgkmcnt(0)
	v_cmp_ge_i32_e32 vcc, s0, v0
	s_and_saveexec_b64 s[0:1], vcc
	s_cbranch_execz .LBB24_2
; %bb.1:
	s_load_dwordx4 s[0:3], s[4:5], 0x0
	v_lshlrev_b32_e32 v0, 1, v0
	s_waitcnt lgkmcnt(0)
	global_load_ushort v1, v0, s[2:3]
	global_load_ushort v2, v0, s[0:1]
	s_waitcnt vmcnt(0)
	v_add_u16_e32 v1, v1, v2
	v_add_u16_e32 v1, 1, v1
	global_store_short v0, v1, s[0:1]
	global_load_ushort v1, v0, s[2:3]
	s_waitcnt vmcnt(0)
	v_add_u16_e32 v1, 1, v1
	global_store_short v0, v1, s[2:3]
.LBB24_2:
	s_endpgm
	.section	.rodata,"a",@progbits
	.p2align	6, 0x0
	.amdhsa_kernel _Z17testOperationsGPUI15HIP_vector_typeIsLj1EES1_EvPT_S3_i
		.amdhsa_group_segment_fixed_size 0
		.amdhsa_private_segment_fixed_size 0
		.amdhsa_kernarg_size 20
		.amdhsa_user_sgpr_count 6
		.amdhsa_user_sgpr_private_segment_buffer 1
		.amdhsa_user_sgpr_dispatch_ptr 0
		.amdhsa_user_sgpr_queue_ptr 0
		.amdhsa_user_sgpr_kernarg_segment_ptr 1
		.amdhsa_user_sgpr_dispatch_id 0
		.amdhsa_user_sgpr_flat_scratch_init 0
		.amdhsa_user_sgpr_private_segment_size 0
		.amdhsa_uses_dynamic_stack 0
		.amdhsa_system_sgpr_private_segment_wavefront_offset 0
		.amdhsa_system_sgpr_workgroup_id_x 1
		.amdhsa_system_sgpr_workgroup_id_y 0
		.amdhsa_system_sgpr_workgroup_id_z 0
		.amdhsa_system_sgpr_workgroup_info 0
		.amdhsa_system_vgpr_workitem_id 0
		.amdhsa_next_free_vgpr 3
		.amdhsa_next_free_sgpr 6
		.amdhsa_reserve_vcc 1
		.amdhsa_reserve_flat_scratch 0
		.amdhsa_float_round_mode_32 0
		.amdhsa_float_round_mode_16_64 0
		.amdhsa_float_denorm_mode_32 3
		.amdhsa_float_denorm_mode_16_64 3
		.amdhsa_dx10_clamp 1
		.amdhsa_ieee_mode 1
		.amdhsa_fp16_overflow 0
		.amdhsa_exception_fp_ieee_invalid_op 0
		.amdhsa_exception_fp_denorm_src 0
		.amdhsa_exception_fp_ieee_div_zero 0
		.amdhsa_exception_fp_ieee_overflow 0
		.amdhsa_exception_fp_ieee_underflow 0
		.amdhsa_exception_fp_ieee_inexact 0
		.amdhsa_exception_int_div_zero 0
	.end_amdhsa_kernel
	.section	.text._Z17testOperationsGPUI15HIP_vector_typeIsLj1EES1_EvPT_S3_i,"axG",@progbits,_Z17testOperationsGPUI15HIP_vector_typeIsLj1EES1_EvPT_S3_i,comdat
.Lfunc_end24:
	.size	_Z17testOperationsGPUI15HIP_vector_typeIsLj1EES1_EvPT_S3_i, .Lfunc_end24-_Z17testOperationsGPUI15HIP_vector_typeIsLj1EES1_EvPT_S3_i
                                        ; -- End function
	.set _Z17testOperationsGPUI15HIP_vector_typeIsLj1EES1_EvPT_S3_i.num_vgpr, 3
	.set _Z17testOperationsGPUI15HIP_vector_typeIsLj1EES1_EvPT_S3_i.num_agpr, 0
	.set _Z17testOperationsGPUI15HIP_vector_typeIsLj1EES1_EvPT_S3_i.numbered_sgpr, 6
	.set _Z17testOperationsGPUI15HIP_vector_typeIsLj1EES1_EvPT_S3_i.num_named_barrier, 0
	.set _Z17testOperationsGPUI15HIP_vector_typeIsLj1EES1_EvPT_S3_i.private_seg_size, 0
	.set _Z17testOperationsGPUI15HIP_vector_typeIsLj1EES1_EvPT_S3_i.uses_vcc, 1
	.set _Z17testOperationsGPUI15HIP_vector_typeIsLj1EES1_EvPT_S3_i.uses_flat_scratch, 0
	.set _Z17testOperationsGPUI15HIP_vector_typeIsLj1EES1_EvPT_S3_i.has_dyn_sized_stack, 0
	.set _Z17testOperationsGPUI15HIP_vector_typeIsLj1EES1_EvPT_S3_i.has_recursion, 0
	.set _Z17testOperationsGPUI15HIP_vector_typeIsLj1EES1_EvPT_S3_i.has_indirect_call, 0
	.section	.AMDGPU.csdata,"",@progbits
; Kernel info:
; codeLenInByte = 104
; TotalNumSgprs: 10
; NumVgprs: 3
; ScratchSize: 0
; MemoryBound: 0
; FloatMode: 240
; IeeeMode: 1
; LDSByteSize: 0 bytes/workgroup (compile time only)
; SGPRBlocks: 1
; VGPRBlocks: 0
; NumSGPRsForWavesPerEU: 10
; NumVGPRsForWavesPerEU: 3
; Occupancy: 10
; WaveLimiterHint : 0
; COMPUTE_PGM_RSRC2:SCRATCH_EN: 0
; COMPUTE_PGM_RSRC2:USER_SGPR: 6
; COMPUTE_PGM_RSRC2:TRAP_HANDLER: 0
; COMPUTE_PGM_RSRC2:TGID_X_EN: 1
; COMPUTE_PGM_RSRC2:TGID_Y_EN: 0
; COMPUTE_PGM_RSRC2:TGID_Z_EN: 0
; COMPUTE_PGM_RSRC2:TIDIG_COMP_CNT: 0
	.section	.text._Z17testOperationsGPUI15HIP_vector_typeIsLj2EES0_IsLj1EEEvPT_S4_i,"axG",@progbits,_Z17testOperationsGPUI15HIP_vector_typeIsLj2EES0_IsLj1EEEvPT_S4_i,comdat
	.protected	_Z17testOperationsGPUI15HIP_vector_typeIsLj2EES0_IsLj1EEEvPT_S4_i ; -- Begin function _Z17testOperationsGPUI15HIP_vector_typeIsLj2EES0_IsLj1EEEvPT_S4_i
	.globl	_Z17testOperationsGPUI15HIP_vector_typeIsLj2EES0_IsLj1EEEvPT_S4_i
	.p2align	8
	.type	_Z17testOperationsGPUI15HIP_vector_typeIsLj2EES0_IsLj1EEEvPT_S4_i,@function
_Z17testOperationsGPUI15HIP_vector_typeIsLj2EES0_IsLj1EEEvPT_S4_i: ; @_Z17testOperationsGPUI15HIP_vector_typeIsLj2EES0_IsLj1EEEvPT_S4_i
; %bb.0:
	s_load_dword s0, s[4:5], 0x10
	s_waitcnt lgkmcnt(0)
	v_cmp_ge_i32_e32 vcc, s0, v0
	s_and_saveexec_b64 s[0:1], vcc
	s_cbranch_execz .LBB25_2
; %bb.1:
	s_load_dwordx4 s[0:3], s[4:5], 0x0
	v_lshlrev_b32_e32 v0, 2, v0
	s_waitcnt lgkmcnt(0)
	global_load_ushort v1, v0, s[2:3]
	global_load_ushort v2, v0, s[0:1]
	s_waitcnt vmcnt(0)
	v_add_u16_e32 v1, v1, v2
	v_add_u16_e32 v1, 1, v1
	global_store_short v0, v1, s[0:1]
	global_load_ushort v1, v0, s[2:3]
	s_waitcnt vmcnt(0)
	v_add_u16_e32 v1, 1, v1
	global_store_short v0, v1, s[0:1] offset:2
	global_load_ushort v2, v0, s[2:3] offset:2
	s_nop 0
	global_store_short v0, v1, s[2:3]
	s_waitcnt vmcnt(1)
	global_store_short v0, v2, s[0:1]
.LBB25_2:
	s_endpgm
	.section	.rodata,"a",@progbits
	.p2align	6, 0x0
	.amdhsa_kernel _Z17testOperationsGPUI15HIP_vector_typeIsLj2EES0_IsLj1EEEvPT_S4_i
		.amdhsa_group_segment_fixed_size 0
		.amdhsa_private_segment_fixed_size 0
		.amdhsa_kernarg_size 20
		.amdhsa_user_sgpr_count 6
		.amdhsa_user_sgpr_private_segment_buffer 1
		.amdhsa_user_sgpr_dispatch_ptr 0
		.amdhsa_user_sgpr_queue_ptr 0
		.amdhsa_user_sgpr_kernarg_segment_ptr 1
		.amdhsa_user_sgpr_dispatch_id 0
		.amdhsa_user_sgpr_flat_scratch_init 0
		.amdhsa_user_sgpr_private_segment_size 0
		.amdhsa_uses_dynamic_stack 0
		.amdhsa_system_sgpr_private_segment_wavefront_offset 0
		.amdhsa_system_sgpr_workgroup_id_x 1
		.amdhsa_system_sgpr_workgroup_id_y 0
		.amdhsa_system_sgpr_workgroup_id_z 0
		.amdhsa_system_sgpr_workgroup_info 0
		.amdhsa_system_vgpr_workitem_id 0
		.amdhsa_next_free_vgpr 3
		.amdhsa_next_free_sgpr 6
		.amdhsa_reserve_vcc 1
		.amdhsa_reserve_flat_scratch 0
		.amdhsa_float_round_mode_32 0
		.amdhsa_float_round_mode_16_64 0
		.amdhsa_float_denorm_mode_32 3
		.amdhsa_float_denorm_mode_16_64 3
		.amdhsa_dx10_clamp 1
		.amdhsa_ieee_mode 1
		.amdhsa_fp16_overflow 0
		.amdhsa_exception_fp_ieee_invalid_op 0
		.amdhsa_exception_fp_denorm_src 0
		.amdhsa_exception_fp_ieee_div_zero 0
		.amdhsa_exception_fp_ieee_overflow 0
		.amdhsa_exception_fp_ieee_underflow 0
		.amdhsa_exception_fp_ieee_inexact 0
		.amdhsa_exception_int_div_zero 0
	.end_amdhsa_kernel
	.section	.text._Z17testOperationsGPUI15HIP_vector_typeIsLj2EES0_IsLj1EEEvPT_S4_i,"axG",@progbits,_Z17testOperationsGPUI15HIP_vector_typeIsLj2EES0_IsLj1EEEvPT_S4_i,comdat
.Lfunc_end25:
	.size	_Z17testOperationsGPUI15HIP_vector_typeIsLj2EES0_IsLj1EEEvPT_S4_i, .Lfunc_end25-_Z17testOperationsGPUI15HIP_vector_typeIsLj2EES0_IsLj1EEEvPT_S4_i
                                        ; -- End function
	.set _Z17testOperationsGPUI15HIP_vector_typeIsLj2EES0_IsLj1EEEvPT_S4_i.num_vgpr, 3
	.set _Z17testOperationsGPUI15HIP_vector_typeIsLj2EES0_IsLj1EEEvPT_S4_i.num_agpr, 0
	.set _Z17testOperationsGPUI15HIP_vector_typeIsLj2EES0_IsLj1EEEvPT_S4_i.numbered_sgpr, 6
	.set _Z17testOperationsGPUI15HIP_vector_typeIsLj2EES0_IsLj1EEEvPT_S4_i.num_named_barrier, 0
	.set _Z17testOperationsGPUI15HIP_vector_typeIsLj2EES0_IsLj1EEEvPT_S4_i.private_seg_size, 0
	.set _Z17testOperationsGPUI15HIP_vector_typeIsLj2EES0_IsLj1EEEvPT_S4_i.uses_vcc, 1
	.set _Z17testOperationsGPUI15HIP_vector_typeIsLj2EES0_IsLj1EEEvPT_S4_i.uses_flat_scratch, 0
	.set _Z17testOperationsGPUI15HIP_vector_typeIsLj2EES0_IsLj1EEEvPT_S4_i.has_dyn_sized_stack, 0
	.set _Z17testOperationsGPUI15HIP_vector_typeIsLj2EES0_IsLj1EEEvPT_S4_i.has_recursion, 0
	.set _Z17testOperationsGPUI15HIP_vector_typeIsLj2EES0_IsLj1EEEvPT_S4_i.has_indirect_call, 0
	.section	.AMDGPU.csdata,"",@progbits
; Kernel info:
; codeLenInByte = 136
; TotalNumSgprs: 10
; NumVgprs: 3
; ScratchSize: 0
; MemoryBound: 0
; FloatMode: 240
; IeeeMode: 1
; LDSByteSize: 0 bytes/workgroup (compile time only)
; SGPRBlocks: 1
; VGPRBlocks: 0
; NumSGPRsForWavesPerEU: 10
; NumVGPRsForWavesPerEU: 3
; Occupancy: 10
; WaveLimiterHint : 0
; COMPUTE_PGM_RSRC2:SCRATCH_EN: 0
; COMPUTE_PGM_RSRC2:USER_SGPR: 6
; COMPUTE_PGM_RSRC2:TRAP_HANDLER: 0
; COMPUTE_PGM_RSRC2:TGID_X_EN: 1
; COMPUTE_PGM_RSRC2:TGID_Y_EN: 0
; COMPUTE_PGM_RSRC2:TGID_Z_EN: 0
; COMPUTE_PGM_RSRC2:TIDIG_COMP_CNT: 0
	.section	.text._Z17testOperationsGPUI15HIP_vector_typeIsLj3EES0_IsLj1EEEvPT_S4_i,"axG",@progbits,_Z17testOperationsGPUI15HIP_vector_typeIsLj3EES0_IsLj1EEEvPT_S4_i,comdat
	.protected	_Z17testOperationsGPUI15HIP_vector_typeIsLj3EES0_IsLj1EEEvPT_S4_i ; -- Begin function _Z17testOperationsGPUI15HIP_vector_typeIsLj3EES0_IsLj1EEEvPT_S4_i
	.globl	_Z17testOperationsGPUI15HIP_vector_typeIsLj3EES0_IsLj1EEEvPT_S4_i
	.p2align	8
	.type	_Z17testOperationsGPUI15HIP_vector_typeIsLj3EES0_IsLj1EEEvPT_S4_i,@function
_Z17testOperationsGPUI15HIP_vector_typeIsLj3EES0_IsLj1EEEvPT_S4_i: ; @_Z17testOperationsGPUI15HIP_vector_typeIsLj3EES0_IsLj1EEEvPT_S4_i
; %bb.0:
	s_load_dword s0, s[4:5], 0x10
	s_waitcnt lgkmcnt(0)
	v_cmp_ge_i32_e32 vcc, s0, v0
	s_and_saveexec_b64 s[0:1], vcc
	s_cbranch_execz .LBB26_4
; %bb.1:
	s_load_dwordx4 s[0:3], s[4:5], 0x0
	s_waitcnt lgkmcnt(0)
	v_mov_b32_e32 v1, s2
	v_mov_b32_e32 v2, s3
	;; [unrolled: 1-line block ×4, first 2 shown]
	v_mad_u64_u32 v[2:3], s[0:1], v0, 6, v[1:2]
	v_mad_u64_u32 v[0:1], s[0:1], v0, 6, v[4:5]
	global_load_ushort v4, v[2:3], off
	global_load_ushort v5, v[0:1], off
	s_waitcnt vmcnt(0)
	v_add_u16_e32 v4, v4, v5
	v_add_u16_e32 v4, 1, v4
	global_store_short v[0:1], v4, off
	global_load_ushort v4, v[2:3], off
	s_waitcnt vmcnt(0)
	v_add_u16_e32 v6, 1, v4
	global_store_short v[0:1], v6, off offset:2
	global_load_ushort v5, v[2:3], off offset:2
	s_nop 0
	global_store_short v[2:3], v6, off
	s_waitcnt vmcnt(1)
	global_store_short v[0:1], v5, off
	v_cmp_lt_i16_e32 vcc, 0, v5
	s_and_saveexec_b64 s[0:1], vcc
	s_cbranch_execz .LBB26_3
; %bb.2:
	global_load_sshort v6, v[2:3], off
	v_cvt_f32_i32_sdwa v7, sext(v5) dst_sel:DWORD dst_unused:UNUSED_PAD src0_sel:WORD_0
	v_rcp_iflag_f32_e32 v9, v7
	s_waitcnt vmcnt(0)
	v_cvt_f32_i32_e32 v8, v6
	v_xor_b32_sdwa v5, v6, sext(v5) dst_sel:DWORD dst_unused:UNUSED_PAD src0_sel:DWORD src1_sel:WORD_0
	v_ashrrev_i32_e32 v5, 30, v5
	v_or_b32_e32 v5, 1, v5
	v_mul_f32_e32 v6, v8, v9
	v_trunc_f32_e32 v6, v6
	v_cvt_i32_f32_e32 v9, v6
	v_mad_f32 v6, -v6, v7, v8
	v_cmp_ge_f32_e64 vcc, |v6|, |v7|
	v_cndmask_b32_e32 v5, 0, v5, vcc
	v_add_u32_e32 v5, v9, v5
	global_store_short v[2:3], v5, off
	global_load_ushort v5, v[0:1], off
.LBB26_3:
	s_or_b64 exec, exec, s[0:1]
	global_load_ushort v2, v[2:3], off offset:4
	s_mov_b32 s0, 0x5040100
	s_waitcnt vmcnt(0)
	v_mul_lo_u16_e32 v2, v2, v5
	v_perm_b32 v2, v4, v2, s0
	global_store_dword v[0:1], v2, off
.LBB26_4:
	s_endpgm
	.section	.rodata,"a",@progbits
	.p2align	6, 0x0
	.amdhsa_kernel _Z17testOperationsGPUI15HIP_vector_typeIsLj3EES0_IsLj1EEEvPT_S4_i
		.amdhsa_group_segment_fixed_size 0
		.amdhsa_private_segment_fixed_size 0
		.amdhsa_kernarg_size 20
		.amdhsa_user_sgpr_count 6
		.amdhsa_user_sgpr_private_segment_buffer 1
		.amdhsa_user_sgpr_dispatch_ptr 0
		.amdhsa_user_sgpr_queue_ptr 0
		.amdhsa_user_sgpr_kernarg_segment_ptr 1
		.amdhsa_user_sgpr_dispatch_id 0
		.amdhsa_user_sgpr_flat_scratch_init 0
		.amdhsa_user_sgpr_private_segment_size 0
		.amdhsa_uses_dynamic_stack 0
		.amdhsa_system_sgpr_private_segment_wavefront_offset 0
		.amdhsa_system_sgpr_workgroup_id_x 1
		.amdhsa_system_sgpr_workgroup_id_y 0
		.amdhsa_system_sgpr_workgroup_id_z 0
		.amdhsa_system_sgpr_workgroup_info 0
		.amdhsa_system_vgpr_workitem_id 0
		.amdhsa_next_free_vgpr 10
		.amdhsa_next_free_sgpr 6
		.amdhsa_reserve_vcc 1
		.amdhsa_reserve_flat_scratch 0
		.amdhsa_float_round_mode_32 0
		.amdhsa_float_round_mode_16_64 0
		.amdhsa_float_denorm_mode_32 3
		.amdhsa_float_denorm_mode_16_64 3
		.amdhsa_dx10_clamp 1
		.amdhsa_ieee_mode 1
		.amdhsa_fp16_overflow 0
		.amdhsa_exception_fp_ieee_invalid_op 0
		.amdhsa_exception_fp_denorm_src 0
		.amdhsa_exception_fp_ieee_div_zero 0
		.amdhsa_exception_fp_ieee_overflow 0
		.amdhsa_exception_fp_ieee_underflow 0
		.amdhsa_exception_fp_ieee_inexact 0
		.amdhsa_exception_int_div_zero 0
	.end_amdhsa_kernel
	.section	.text._Z17testOperationsGPUI15HIP_vector_typeIsLj3EES0_IsLj1EEEvPT_S4_i,"axG",@progbits,_Z17testOperationsGPUI15HIP_vector_typeIsLj3EES0_IsLj1EEEvPT_S4_i,comdat
.Lfunc_end26:
	.size	_Z17testOperationsGPUI15HIP_vector_typeIsLj3EES0_IsLj1EEEvPT_S4_i, .Lfunc_end26-_Z17testOperationsGPUI15HIP_vector_typeIsLj3EES0_IsLj1EEEvPT_S4_i
                                        ; -- End function
	.set _Z17testOperationsGPUI15HIP_vector_typeIsLj3EES0_IsLj1EEEvPT_S4_i.num_vgpr, 10
	.set _Z17testOperationsGPUI15HIP_vector_typeIsLj3EES0_IsLj1EEEvPT_S4_i.num_agpr, 0
	.set _Z17testOperationsGPUI15HIP_vector_typeIsLj3EES0_IsLj1EEEvPT_S4_i.numbered_sgpr, 6
	.set _Z17testOperationsGPUI15HIP_vector_typeIsLj3EES0_IsLj1EEEvPT_S4_i.num_named_barrier, 0
	.set _Z17testOperationsGPUI15HIP_vector_typeIsLj3EES0_IsLj1EEEvPT_S4_i.private_seg_size, 0
	.set _Z17testOperationsGPUI15HIP_vector_typeIsLj3EES0_IsLj1EEEvPT_S4_i.uses_vcc, 1
	.set _Z17testOperationsGPUI15HIP_vector_typeIsLj3EES0_IsLj1EEEvPT_S4_i.uses_flat_scratch, 0
	.set _Z17testOperationsGPUI15HIP_vector_typeIsLj3EES0_IsLj1EEEvPT_S4_i.has_dyn_sized_stack, 0
	.set _Z17testOperationsGPUI15HIP_vector_typeIsLj3EES0_IsLj1EEEvPT_S4_i.has_recursion, 0
	.set _Z17testOperationsGPUI15HIP_vector_typeIsLj3EES0_IsLj1EEEvPT_S4_i.has_indirect_call, 0
	.section	.AMDGPU.csdata,"",@progbits
; Kernel info:
; codeLenInByte = 316
; TotalNumSgprs: 10
; NumVgprs: 10
; ScratchSize: 0
; MemoryBound: 0
; FloatMode: 240
; IeeeMode: 1
; LDSByteSize: 0 bytes/workgroup (compile time only)
; SGPRBlocks: 1
; VGPRBlocks: 2
; NumSGPRsForWavesPerEU: 10
; NumVGPRsForWavesPerEU: 10
; Occupancy: 10
; WaveLimiterHint : 0
; COMPUTE_PGM_RSRC2:SCRATCH_EN: 0
; COMPUTE_PGM_RSRC2:USER_SGPR: 6
; COMPUTE_PGM_RSRC2:TRAP_HANDLER: 0
; COMPUTE_PGM_RSRC2:TGID_X_EN: 1
; COMPUTE_PGM_RSRC2:TGID_Y_EN: 0
; COMPUTE_PGM_RSRC2:TGID_Z_EN: 0
; COMPUTE_PGM_RSRC2:TIDIG_COMP_CNT: 0
	.section	.text._Z17testOperationsGPUI15HIP_vector_typeIsLj4EES0_IsLj1EEEvPT_S4_i,"axG",@progbits,_Z17testOperationsGPUI15HIP_vector_typeIsLj4EES0_IsLj1EEEvPT_S4_i,comdat
	.protected	_Z17testOperationsGPUI15HIP_vector_typeIsLj4EES0_IsLj1EEEvPT_S4_i ; -- Begin function _Z17testOperationsGPUI15HIP_vector_typeIsLj4EES0_IsLj1EEEvPT_S4_i
	.globl	_Z17testOperationsGPUI15HIP_vector_typeIsLj4EES0_IsLj1EEEvPT_S4_i
	.p2align	8
	.type	_Z17testOperationsGPUI15HIP_vector_typeIsLj4EES0_IsLj1EEEvPT_S4_i,@function
_Z17testOperationsGPUI15HIP_vector_typeIsLj4EES0_IsLj1EEEvPT_S4_i: ; @_Z17testOperationsGPUI15HIP_vector_typeIsLj4EES0_IsLj1EEEvPT_S4_i
; %bb.0:
	s_load_dword s0, s[4:5], 0x10
	s_waitcnt lgkmcnt(0)
	v_cmp_ge_i32_e32 vcc, s0, v0
	s_and_saveexec_b64 s[0:1], vcc
	s_cbranch_execz .LBB27_4
; %bb.1:
	s_load_dwordx4 s[0:3], s[4:5], 0x0
	v_lshlrev_b32_e32 v6, 3, v0
	s_waitcnt lgkmcnt(0)
	global_load_ushort v0, v6, s[2:3]
	global_load_ushort v1, v6, s[0:1]
	v_mov_b32_e32 v3, s3
	s_waitcnt vmcnt(0)
	v_add_u16_e32 v0, v0, v1
	v_add_u16_e32 v0, 1, v0
	global_store_short v6, v0, s[0:1]
	global_load_ushort v4, v6, s[2:3]
	v_mov_b32_e32 v1, s1
	v_add_co_u32_e32 v0, vcc, s0, v6
	v_addc_co_u32_e32 v1, vcc, 0, v1, vcc
	v_add_co_u32_e32 v2, vcc, s2, v6
	v_addc_co_u32_e32 v3, vcc, 0, v3, vcc
	s_waitcnt vmcnt(0)
	v_add_u16_e32 v7, 1, v4
	global_store_short v6, v7, s[0:1] offset:2
	global_load_ushort v5, v6, s[2:3] offset:2
	s_nop 0
	global_store_short v6, v7, s[2:3]
	s_waitcnt vmcnt(1)
	global_store_short v6, v5, s[0:1]
	v_cmp_lt_i16_e32 vcc, 0, v5
	s_and_saveexec_b64 s[0:1], vcc
	s_cbranch_execz .LBB27_3
; %bb.2:
	global_load_sshort v6, v[2:3], off
	v_cvt_f32_i32_sdwa v7, sext(v5) dst_sel:DWORD dst_unused:UNUSED_PAD src0_sel:WORD_0
	v_rcp_iflag_f32_e32 v9, v7
	s_waitcnt vmcnt(0)
	v_cvt_f32_i32_e32 v8, v6
	v_xor_b32_sdwa v5, v6, sext(v5) dst_sel:DWORD dst_unused:UNUSED_PAD src0_sel:DWORD src1_sel:WORD_0
	v_ashrrev_i32_e32 v5, 30, v5
	v_or_b32_e32 v5, 1, v5
	v_mul_f32_e32 v6, v8, v9
	v_trunc_f32_e32 v6, v6
	v_cvt_i32_f32_e32 v9, v6
	v_mad_f32 v6, -v6, v7, v8
	v_cmp_ge_f32_e64 vcc, |v6|, |v7|
	v_cndmask_b32_e32 v5, 0, v5, vcc
	v_add_u32_e32 v5, v9, v5
	global_store_short v[2:3], v5, off
	global_load_ushort v5, v[0:1], off
.LBB27_3:
	s_or_b64 exec, exec, s[0:1]
	global_load_ushort v6, v[2:3], off offset:4
	s_mov_b32 s0, 0x5040100
	s_waitcnt vmcnt(0)
	v_mul_lo_u16_e32 v5, v6, v5
	v_perm_b32 v4, v4, v5, s0
	global_store_dword v[0:1], v4, off
	global_store_short v[2:3], v5, off offset:6
	global_load_ushort v4, v[2:3], off offset:2
	s_nop 0
	global_load_ushort v5, v[0:1], off offset:6
	s_waitcnt vmcnt(0)
	v_sub_u16_e32 v2, v5, v4
	global_store_short v[0:1], v2, off offset:6
.LBB27_4:
	s_endpgm
	.section	.rodata,"a",@progbits
	.p2align	6, 0x0
	.amdhsa_kernel _Z17testOperationsGPUI15HIP_vector_typeIsLj4EES0_IsLj1EEEvPT_S4_i
		.amdhsa_group_segment_fixed_size 0
		.amdhsa_private_segment_fixed_size 0
		.amdhsa_kernarg_size 20
		.amdhsa_user_sgpr_count 6
		.amdhsa_user_sgpr_private_segment_buffer 1
		.amdhsa_user_sgpr_dispatch_ptr 0
		.amdhsa_user_sgpr_queue_ptr 0
		.amdhsa_user_sgpr_kernarg_segment_ptr 1
		.amdhsa_user_sgpr_dispatch_id 0
		.amdhsa_user_sgpr_flat_scratch_init 0
		.amdhsa_user_sgpr_private_segment_size 0
		.amdhsa_uses_dynamic_stack 0
		.amdhsa_system_sgpr_private_segment_wavefront_offset 0
		.amdhsa_system_sgpr_workgroup_id_x 1
		.amdhsa_system_sgpr_workgroup_id_y 0
		.amdhsa_system_sgpr_workgroup_id_z 0
		.amdhsa_system_sgpr_workgroup_info 0
		.amdhsa_system_vgpr_workitem_id 0
		.amdhsa_next_free_vgpr 10
		.amdhsa_next_free_sgpr 6
		.amdhsa_reserve_vcc 1
		.amdhsa_reserve_flat_scratch 0
		.amdhsa_float_round_mode_32 0
		.amdhsa_float_round_mode_16_64 0
		.amdhsa_float_denorm_mode_32 3
		.amdhsa_float_denorm_mode_16_64 3
		.amdhsa_dx10_clamp 1
		.amdhsa_ieee_mode 1
		.amdhsa_fp16_overflow 0
		.amdhsa_exception_fp_ieee_invalid_op 0
		.amdhsa_exception_fp_denorm_src 0
		.amdhsa_exception_fp_ieee_div_zero 0
		.amdhsa_exception_fp_ieee_overflow 0
		.amdhsa_exception_fp_ieee_underflow 0
		.amdhsa_exception_fp_ieee_inexact 0
		.amdhsa_exception_int_div_zero 0
	.end_amdhsa_kernel
	.section	.text._Z17testOperationsGPUI15HIP_vector_typeIsLj4EES0_IsLj1EEEvPT_S4_i,"axG",@progbits,_Z17testOperationsGPUI15HIP_vector_typeIsLj4EES0_IsLj1EEEvPT_S4_i,comdat
.Lfunc_end27:
	.size	_Z17testOperationsGPUI15HIP_vector_typeIsLj4EES0_IsLj1EEEvPT_S4_i, .Lfunc_end27-_Z17testOperationsGPUI15HIP_vector_typeIsLj4EES0_IsLj1EEEvPT_S4_i
                                        ; -- End function
	.set _Z17testOperationsGPUI15HIP_vector_typeIsLj4EES0_IsLj1EEEvPT_S4_i.num_vgpr, 10
	.set _Z17testOperationsGPUI15HIP_vector_typeIsLj4EES0_IsLj1EEEvPT_S4_i.num_agpr, 0
	.set _Z17testOperationsGPUI15HIP_vector_typeIsLj4EES0_IsLj1EEEvPT_S4_i.numbered_sgpr, 6
	.set _Z17testOperationsGPUI15HIP_vector_typeIsLj4EES0_IsLj1EEEvPT_S4_i.num_named_barrier, 0
	.set _Z17testOperationsGPUI15HIP_vector_typeIsLj4EES0_IsLj1EEEvPT_S4_i.private_seg_size, 0
	.set _Z17testOperationsGPUI15HIP_vector_typeIsLj4EES0_IsLj1EEEvPT_S4_i.uses_vcc, 1
	.set _Z17testOperationsGPUI15HIP_vector_typeIsLj4EES0_IsLj1EEEvPT_S4_i.uses_flat_scratch, 0
	.set _Z17testOperationsGPUI15HIP_vector_typeIsLj4EES0_IsLj1EEEvPT_S4_i.has_dyn_sized_stack, 0
	.set _Z17testOperationsGPUI15HIP_vector_typeIsLj4EES0_IsLj1EEEvPT_S4_i.has_recursion, 0
	.set _Z17testOperationsGPUI15HIP_vector_typeIsLj4EES0_IsLj1EEEvPT_S4_i.has_indirect_call, 0
	.section	.AMDGPU.csdata,"",@progbits
; Kernel info:
; codeLenInByte = 356
; TotalNumSgprs: 10
; NumVgprs: 10
; ScratchSize: 0
; MemoryBound: 0
; FloatMode: 240
; IeeeMode: 1
; LDSByteSize: 0 bytes/workgroup (compile time only)
; SGPRBlocks: 1
; VGPRBlocks: 2
; NumSGPRsForWavesPerEU: 10
; NumVGPRsForWavesPerEU: 10
; Occupancy: 10
; WaveLimiterHint : 0
; COMPUTE_PGM_RSRC2:SCRATCH_EN: 0
; COMPUTE_PGM_RSRC2:USER_SGPR: 6
; COMPUTE_PGM_RSRC2:TRAP_HANDLER: 0
; COMPUTE_PGM_RSRC2:TGID_X_EN: 1
; COMPUTE_PGM_RSRC2:TGID_Y_EN: 0
; COMPUTE_PGM_RSRC2:TGID_Z_EN: 0
; COMPUTE_PGM_RSRC2:TIDIG_COMP_CNT: 0
	.section	.text._Z17testOperationsGPUI15HIP_vector_typeIjLj1EES1_EvPT_S3_i,"axG",@progbits,_Z17testOperationsGPUI15HIP_vector_typeIjLj1EES1_EvPT_S3_i,comdat
	.protected	_Z17testOperationsGPUI15HIP_vector_typeIjLj1EES1_EvPT_S3_i ; -- Begin function _Z17testOperationsGPUI15HIP_vector_typeIjLj1EES1_EvPT_S3_i
	.globl	_Z17testOperationsGPUI15HIP_vector_typeIjLj1EES1_EvPT_S3_i
	.p2align	8
	.type	_Z17testOperationsGPUI15HIP_vector_typeIjLj1EES1_EvPT_S3_i,@function
_Z17testOperationsGPUI15HIP_vector_typeIjLj1EES1_EvPT_S3_i: ; @_Z17testOperationsGPUI15HIP_vector_typeIjLj1EES1_EvPT_S3_i
; %bb.0:
	s_load_dword s0, s[4:5], 0x10
	s_waitcnt lgkmcnt(0)
	v_cmp_ge_i32_e32 vcc, s0, v0
	s_and_saveexec_b64 s[0:1], vcc
	s_cbranch_execz .LBB28_2
; %bb.1:
	s_load_dwordx4 s[0:3], s[4:5], 0x0
	v_lshlrev_b32_e32 v0, 2, v0
	s_waitcnt lgkmcnt(0)
	global_load_dword v1, v0, s[2:3]
	global_load_dword v2, v0, s[0:1]
	s_waitcnt vmcnt(0)
	v_add3_u32 v1, v1, v2, 1
	global_store_dword v0, v1, s[0:1]
	global_load_dword v1, v0, s[2:3]
	s_waitcnt vmcnt(0)
	v_add_u32_e32 v1, 1, v1
	global_store_dword v0, v1, s[2:3]
.LBB28_2:
	s_endpgm
	.section	.rodata,"a",@progbits
	.p2align	6, 0x0
	.amdhsa_kernel _Z17testOperationsGPUI15HIP_vector_typeIjLj1EES1_EvPT_S3_i
		.amdhsa_group_segment_fixed_size 0
		.amdhsa_private_segment_fixed_size 0
		.amdhsa_kernarg_size 20
		.amdhsa_user_sgpr_count 6
		.amdhsa_user_sgpr_private_segment_buffer 1
		.amdhsa_user_sgpr_dispatch_ptr 0
		.amdhsa_user_sgpr_queue_ptr 0
		.amdhsa_user_sgpr_kernarg_segment_ptr 1
		.amdhsa_user_sgpr_dispatch_id 0
		.amdhsa_user_sgpr_flat_scratch_init 0
		.amdhsa_user_sgpr_private_segment_size 0
		.amdhsa_uses_dynamic_stack 0
		.amdhsa_system_sgpr_private_segment_wavefront_offset 0
		.amdhsa_system_sgpr_workgroup_id_x 1
		.amdhsa_system_sgpr_workgroup_id_y 0
		.amdhsa_system_sgpr_workgroup_id_z 0
		.amdhsa_system_sgpr_workgroup_info 0
		.amdhsa_system_vgpr_workitem_id 0
		.amdhsa_next_free_vgpr 3
		.amdhsa_next_free_sgpr 6
		.amdhsa_reserve_vcc 1
		.amdhsa_reserve_flat_scratch 0
		.amdhsa_float_round_mode_32 0
		.amdhsa_float_round_mode_16_64 0
		.amdhsa_float_denorm_mode_32 3
		.amdhsa_float_denorm_mode_16_64 3
		.amdhsa_dx10_clamp 1
		.amdhsa_ieee_mode 1
		.amdhsa_fp16_overflow 0
		.amdhsa_exception_fp_ieee_invalid_op 0
		.amdhsa_exception_fp_denorm_src 0
		.amdhsa_exception_fp_ieee_div_zero 0
		.amdhsa_exception_fp_ieee_overflow 0
		.amdhsa_exception_fp_ieee_underflow 0
		.amdhsa_exception_fp_ieee_inexact 0
		.amdhsa_exception_int_div_zero 0
	.end_amdhsa_kernel
	.section	.text._Z17testOperationsGPUI15HIP_vector_typeIjLj1EES1_EvPT_S3_i,"axG",@progbits,_Z17testOperationsGPUI15HIP_vector_typeIjLj1EES1_EvPT_S3_i,comdat
.Lfunc_end28:
	.size	_Z17testOperationsGPUI15HIP_vector_typeIjLj1EES1_EvPT_S3_i, .Lfunc_end28-_Z17testOperationsGPUI15HIP_vector_typeIjLj1EES1_EvPT_S3_i
                                        ; -- End function
	.set _Z17testOperationsGPUI15HIP_vector_typeIjLj1EES1_EvPT_S3_i.num_vgpr, 3
	.set _Z17testOperationsGPUI15HIP_vector_typeIjLj1EES1_EvPT_S3_i.num_agpr, 0
	.set _Z17testOperationsGPUI15HIP_vector_typeIjLj1EES1_EvPT_S3_i.numbered_sgpr, 6
	.set _Z17testOperationsGPUI15HIP_vector_typeIjLj1EES1_EvPT_S3_i.num_named_barrier, 0
	.set _Z17testOperationsGPUI15HIP_vector_typeIjLj1EES1_EvPT_S3_i.private_seg_size, 0
	.set _Z17testOperationsGPUI15HIP_vector_typeIjLj1EES1_EvPT_S3_i.uses_vcc, 1
	.set _Z17testOperationsGPUI15HIP_vector_typeIjLj1EES1_EvPT_S3_i.uses_flat_scratch, 0
	.set _Z17testOperationsGPUI15HIP_vector_typeIjLj1EES1_EvPT_S3_i.has_dyn_sized_stack, 0
	.set _Z17testOperationsGPUI15HIP_vector_typeIjLj1EES1_EvPT_S3_i.has_recursion, 0
	.set _Z17testOperationsGPUI15HIP_vector_typeIjLj1EES1_EvPT_S3_i.has_indirect_call, 0
	.section	.AMDGPU.csdata,"",@progbits
; Kernel info:
; codeLenInByte = 104
; TotalNumSgprs: 10
; NumVgprs: 3
; ScratchSize: 0
; MemoryBound: 0
; FloatMode: 240
; IeeeMode: 1
; LDSByteSize: 0 bytes/workgroup (compile time only)
; SGPRBlocks: 1
; VGPRBlocks: 0
; NumSGPRsForWavesPerEU: 10
; NumVGPRsForWavesPerEU: 3
; Occupancy: 10
; WaveLimiterHint : 0
; COMPUTE_PGM_RSRC2:SCRATCH_EN: 0
; COMPUTE_PGM_RSRC2:USER_SGPR: 6
; COMPUTE_PGM_RSRC2:TRAP_HANDLER: 0
; COMPUTE_PGM_RSRC2:TGID_X_EN: 1
; COMPUTE_PGM_RSRC2:TGID_Y_EN: 0
; COMPUTE_PGM_RSRC2:TGID_Z_EN: 0
; COMPUTE_PGM_RSRC2:TIDIG_COMP_CNT: 0
	.section	.text._Z17testOperationsGPUI15HIP_vector_typeIjLj2EES0_IjLj1EEEvPT_S4_i,"axG",@progbits,_Z17testOperationsGPUI15HIP_vector_typeIjLj2EES0_IjLj1EEEvPT_S4_i,comdat
	.protected	_Z17testOperationsGPUI15HIP_vector_typeIjLj2EES0_IjLj1EEEvPT_S4_i ; -- Begin function _Z17testOperationsGPUI15HIP_vector_typeIjLj2EES0_IjLj1EEEvPT_S4_i
	.globl	_Z17testOperationsGPUI15HIP_vector_typeIjLj2EES0_IjLj1EEEvPT_S4_i
	.p2align	8
	.type	_Z17testOperationsGPUI15HIP_vector_typeIjLj2EES0_IjLj1EEEvPT_S4_i,@function
_Z17testOperationsGPUI15HIP_vector_typeIjLj2EES0_IjLj1EEEvPT_S4_i: ; @_Z17testOperationsGPUI15HIP_vector_typeIjLj2EES0_IjLj1EEEvPT_S4_i
; %bb.0:
	s_load_dword s0, s[4:5], 0x10
	s_waitcnt lgkmcnt(0)
	v_cmp_ge_i32_e32 vcc, s0, v0
	s_and_saveexec_b64 s[0:1], vcc
	s_cbranch_execz .LBB29_2
; %bb.1:
	s_load_dwordx4 s[0:3], s[4:5], 0x0
	v_lshlrev_b32_e32 v0, 3, v0
	s_waitcnt lgkmcnt(0)
	global_load_dword v1, v0, s[2:3]
	global_load_dword v2, v0, s[0:1]
	s_waitcnt vmcnt(0)
	v_add3_u32 v1, v1, v2, 1
	global_store_dword v0, v1, s[0:1]
	global_load_dword v1, v0, s[2:3]
	s_waitcnt vmcnt(0)
	v_add_u32_e32 v1, 1, v1
	global_store_dword v0, v1, s[0:1] offset:4
	global_load_dword v2, v0, s[2:3] offset:4
	s_nop 0
	global_store_dword v0, v1, s[2:3]
	s_waitcnt vmcnt(1)
	global_store_dword v0, v2, s[0:1]
.LBB29_2:
	s_endpgm
	.section	.rodata,"a",@progbits
	.p2align	6, 0x0
	.amdhsa_kernel _Z17testOperationsGPUI15HIP_vector_typeIjLj2EES0_IjLj1EEEvPT_S4_i
		.amdhsa_group_segment_fixed_size 0
		.amdhsa_private_segment_fixed_size 0
		.amdhsa_kernarg_size 20
		.amdhsa_user_sgpr_count 6
		.amdhsa_user_sgpr_private_segment_buffer 1
		.amdhsa_user_sgpr_dispatch_ptr 0
		.amdhsa_user_sgpr_queue_ptr 0
		.amdhsa_user_sgpr_kernarg_segment_ptr 1
		.amdhsa_user_sgpr_dispatch_id 0
		.amdhsa_user_sgpr_flat_scratch_init 0
		.amdhsa_user_sgpr_private_segment_size 0
		.amdhsa_uses_dynamic_stack 0
		.amdhsa_system_sgpr_private_segment_wavefront_offset 0
		.amdhsa_system_sgpr_workgroup_id_x 1
		.amdhsa_system_sgpr_workgroup_id_y 0
		.amdhsa_system_sgpr_workgroup_id_z 0
		.amdhsa_system_sgpr_workgroup_info 0
		.amdhsa_system_vgpr_workitem_id 0
		.amdhsa_next_free_vgpr 3
		.amdhsa_next_free_sgpr 6
		.amdhsa_reserve_vcc 1
		.amdhsa_reserve_flat_scratch 0
		.amdhsa_float_round_mode_32 0
		.amdhsa_float_round_mode_16_64 0
		.amdhsa_float_denorm_mode_32 3
		.amdhsa_float_denorm_mode_16_64 3
		.amdhsa_dx10_clamp 1
		.amdhsa_ieee_mode 1
		.amdhsa_fp16_overflow 0
		.amdhsa_exception_fp_ieee_invalid_op 0
		.amdhsa_exception_fp_denorm_src 0
		.amdhsa_exception_fp_ieee_div_zero 0
		.amdhsa_exception_fp_ieee_overflow 0
		.amdhsa_exception_fp_ieee_underflow 0
		.amdhsa_exception_fp_ieee_inexact 0
		.amdhsa_exception_int_div_zero 0
	.end_amdhsa_kernel
	.section	.text._Z17testOperationsGPUI15HIP_vector_typeIjLj2EES0_IjLj1EEEvPT_S4_i,"axG",@progbits,_Z17testOperationsGPUI15HIP_vector_typeIjLj2EES0_IjLj1EEEvPT_S4_i,comdat
.Lfunc_end29:
	.size	_Z17testOperationsGPUI15HIP_vector_typeIjLj2EES0_IjLj1EEEvPT_S4_i, .Lfunc_end29-_Z17testOperationsGPUI15HIP_vector_typeIjLj2EES0_IjLj1EEEvPT_S4_i
                                        ; -- End function
	.set _Z17testOperationsGPUI15HIP_vector_typeIjLj2EES0_IjLj1EEEvPT_S4_i.num_vgpr, 3
	.set _Z17testOperationsGPUI15HIP_vector_typeIjLj2EES0_IjLj1EEEvPT_S4_i.num_agpr, 0
	.set _Z17testOperationsGPUI15HIP_vector_typeIjLj2EES0_IjLj1EEEvPT_S4_i.numbered_sgpr, 6
	.set _Z17testOperationsGPUI15HIP_vector_typeIjLj2EES0_IjLj1EEEvPT_S4_i.num_named_barrier, 0
	.set _Z17testOperationsGPUI15HIP_vector_typeIjLj2EES0_IjLj1EEEvPT_S4_i.private_seg_size, 0
	.set _Z17testOperationsGPUI15HIP_vector_typeIjLj2EES0_IjLj1EEEvPT_S4_i.uses_vcc, 1
	.set _Z17testOperationsGPUI15HIP_vector_typeIjLj2EES0_IjLj1EEEvPT_S4_i.uses_flat_scratch, 0
	.set _Z17testOperationsGPUI15HIP_vector_typeIjLj2EES0_IjLj1EEEvPT_S4_i.has_dyn_sized_stack, 0
	.set _Z17testOperationsGPUI15HIP_vector_typeIjLj2EES0_IjLj1EEEvPT_S4_i.has_recursion, 0
	.set _Z17testOperationsGPUI15HIP_vector_typeIjLj2EES0_IjLj1EEEvPT_S4_i.has_indirect_call, 0
	.section	.AMDGPU.csdata,"",@progbits
; Kernel info:
; codeLenInByte = 136
; TotalNumSgprs: 10
; NumVgprs: 3
; ScratchSize: 0
; MemoryBound: 0
; FloatMode: 240
; IeeeMode: 1
; LDSByteSize: 0 bytes/workgroup (compile time only)
; SGPRBlocks: 1
; VGPRBlocks: 0
; NumSGPRsForWavesPerEU: 10
; NumVGPRsForWavesPerEU: 3
; Occupancy: 10
; WaveLimiterHint : 0
; COMPUTE_PGM_RSRC2:SCRATCH_EN: 0
; COMPUTE_PGM_RSRC2:USER_SGPR: 6
; COMPUTE_PGM_RSRC2:TRAP_HANDLER: 0
; COMPUTE_PGM_RSRC2:TGID_X_EN: 1
; COMPUTE_PGM_RSRC2:TGID_Y_EN: 0
; COMPUTE_PGM_RSRC2:TGID_Z_EN: 0
; COMPUTE_PGM_RSRC2:TIDIG_COMP_CNT: 0
	.section	.text._Z17testOperationsGPUI15HIP_vector_typeIjLj3EES0_IjLj1EEEvPT_S4_i,"axG",@progbits,_Z17testOperationsGPUI15HIP_vector_typeIjLj3EES0_IjLj1EEEvPT_S4_i,comdat
	.protected	_Z17testOperationsGPUI15HIP_vector_typeIjLj3EES0_IjLj1EEEvPT_S4_i ; -- Begin function _Z17testOperationsGPUI15HIP_vector_typeIjLj3EES0_IjLj1EEEvPT_S4_i
	.globl	_Z17testOperationsGPUI15HIP_vector_typeIjLj3EES0_IjLj1EEEvPT_S4_i
	.p2align	8
	.type	_Z17testOperationsGPUI15HIP_vector_typeIjLj3EES0_IjLj1EEEvPT_S4_i,@function
_Z17testOperationsGPUI15HIP_vector_typeIjLj3EES0_IjLj1EEEvPT_S4_i: ; @_Z17testOperationsGPUI15HIP_vector_typeIjLj3EES0_IjLj1EEEvPT_S4_i
; %bb.0:
	s_load_dword s0, s[4:5], 0x10
	s_waitcnt lgkmcnt(0)
	v_cmp_ge_i32_e32 vcc, s0, v0
	s_and_saveexec_b64 s[0:1], vcc
	s_cbranch_execz .LBB30_4
; %bb.1:
	s_load_dwordx4 s[0:3], s[4:5], 0x0
	v_mov_b32_e32 v6, 0
	s_waitcnt lgkmcnt(0)
	v_mov_b32_e32 v1, s2
	v_mov_b32_e32 v2, s3
	;; [unrolled: 1-line block ×4, first 2 shown]
	v_mad_u64_u32 v[2:3], s[0:1], v0, 12, v[1:2]
	v_mad_u64_u32 v[0:1], s[0:1], v0, 12, v[4:5]
	global_load_dword v4, v[2:3], off
	global_load_dword v5, v[0:1], off
	s_waitcnt vmcnt(0)
	v_add3_u32 v4, v4, v5, 1
	global_store_dword v[0:1], v4, off
	global_load_dword v4, v[2:3], off
	s_waitcnt vmcnt(0)
	v_add_u32_e32 v7, 1, v4
	global_store_dword v[0:1], v7, off offset:4
	global_load_dword v5, v[2:3], off offset:4
	s_nop 0
	global_store_dword v[2:3], v7, off
	s_waitcnt vmcnt(1)
	global_store_dword v[0:1], v5, off
	v_cmp_ne_u32_e32 vcc, 0, v5
	s_and_saveexec_b64 s[0:1], vcc
	s_cbranch_execz .LBB30_3
; %bb.2:
	global_load_dword v6, v[2:3], off
	v_cvt_f32_u32_e32 v7, v5
	v_sub_u32_e32 v8, 0, v5
	v_rcp_iflag_f32_e32 v7, v7
	v_mul_f32_e32 v7, 0x4f7ffffe, v7
	v_cvt_u32_f32_e32 v7, v7
	v_mul_lo_u32 v8, v8, v7
	v_mul_hi_u32 v8, v7, v8
	v_add_u32_e32 v7, v7, v8
	s_waitcnt vmcnt(0)
	v_mul_hi_u32 v7, v6, v7
	v_mul_lo_u32 v8, v7, v5
	v_add_u32_e32 v9, 1, v7
	v_sub_u32_e32 v6, v6, v8
	v_cmp_ge_u32_e32 vcc, v6, v5
	v_sub_u32_e32 v8, v6, v5
	v_cndmask_b32_e32 v7, v7, v9, vcc
	v_cndmask_b32_e32 v6, v6, v8, vcc
	v_add_u32_e32 v8, 1, v7
	v_cmp_ge_u32_e32 vcc, v6, v5
	v_cndmask_b32_e32 v5, v7, v8, vcc
	global_store_dword v[2:3], v5, off
	global_load_dword v6, v[0:1], off
.LBB30_3:
	s_or_b64 exec, exec, s[0:1]
	global_load_dword v2, v[2:3], off offset:8
	s_waitcnt vmcnt(0)
	v_mul_lo_u32 v3, v2, v6
	global_store_dwordx2 v[0:1], v[3:4], off
.LBB30_4:
	s_endpgm
	.section	.rodata,"a",@progbits
	.p2align	6, 0x0
	.amdhsa_kernel _Z17testOperationsGPUI15HIP_vector_typeIjLj3EES0_IjLj1EEEvPT_S4_i
		.amdhsa_group_segment_fixed_size 0
		.amdhsa_private_segment_fixed_size 0
		.amdhsa_kernarg_size 20
		.amdhsa_user_sgpr_count 6
		.amdhsa_user_sgpr_private_segment_buffer 1
		.amdhsa_user_sgpr_dispatch_ptr 0
		.amdhsa_user_sgpr_queue_ptr 0
		.amdhsa_user_sgpr_kernarg_segment_ptr 1
		.amdhsa_user_sgpr_dispatch_id 0
		.amdhsa_user_sgpr_flat_scratch_init 0
		.amdhsa_user_sgpr_private_segment_size 0
		.amdhsa_uses_dynamic_stack 0
		.amdhsa_system_sgpr_private_segment_wavefront_offset 0
		.amdhsa_system_sgpr_workgroup_id_x 1
		.amdhsa_system_sgpr_workgroup_id_y 0
		.amdhsa_system_sgpr_workgroup_id_z 0
		.amdhsa_system_sgpr_workgroup_info 0
		.amdhsa_system_vgpr_workitem_id 0
		.amdhsa_next_free_vgpr 10
		.amdhsa_next_free_sgpr 6
		.amdhsa_reserve_vcc 1
		.amdhsa_reserve_flat_scratch 0
		.amdhsa_float_round_mode_32 0
		.amdhsa_float_round_mode_16_64 0
		.amdhsa_float_denorm_mode_32 3
		.amdhsa_float_denorm_mode_16_64 3
		.amdhsa_dx10_clamp 1
		.amdhsa_ieee_mode 1
		.amdhsa_fp16_overflow 0
		.amdhsa_exception_fp_ieee_invalid_op 0
		.amdhsa_exception_fp_denorm_src 0
		.amdhsa_exception_fp_ieee_div_zero 0
		.amdhsa_exception_fp_ieee_overflow 0
		.amdhsa_exception_fp_ieee_underflow 0
		.amdhsa_exception_fp_ieee_inexact 0
		.amdhsa_exception_int_div_zero 0
	.end_amdhsa_kernel
	.section	.text._Z17testOperationsGPUI15HIP_vector_typeIjLj3EES0_IjLj1EEEvPT_S4_i,"axG",@progbits,_Z17testOperationsGPUI15HIP_vector_typeIjLj3EES0_IjLj1EEEvPT_S4_i,comdat
.Lfunc_end30:
	.size	_Z17testOperationsGPUI15HIP_vector_typeIjLj3EES0_IjLj1EEEvPT_S4_i, .Lfunc_end30-_Z17testOperationsGPUI15HIP_vector_typeIjLj3EES0_IjLj1EEEvPT_S4_i
                                        ; -- End function
	.set _Z17testOperationsGPUI15HIP_vector_typeIjLj3EES0_IjLj1EEEvPT_S4_i.num_vgpr, 10
	.set _Z17testOperationsGPUI15HIP_vector_typeIjLj3EES0_IjLj1EEEvPT_S4_i.num_agpr, 0
	.set _Z17testOperationsGPUI15HIP_vector_typeIjLj3EES0_IjLj1EEEvPT_S4_i.numbered_sgpr, 6
	.set _Z17testOperationsGPUI15HIP_vector_typeIjLj3EES0_IjLj1EEEvPT_S4_i.num_named_barrier, 0
	.set _Z17testOperationsGPUI15HIP_vector_typeIjLj3EES0_IjLj1EEEvPT_S4_i.private_seg_size, 0
	.set _Z17testOperationsGPUI15HIP_vector_typeIjLj3EES0_IjLj1EEEvPT_S4_i.uses_vcc, 1
	.set _Z17testOperationsGPUI15HIP_vector_typeIjLj3EES0_IjLj1EEEvPT_S4_i.uses_flat_scratch, 0
	.set _Z17testOperationsGPUI15HIP_vector_typeIjLj3EES0_IjLj1EEEvPT_S4_i.has_dyn_sized_stack, 0
	.set _Z17testOperationsGPUI15HIP_vector_typeIjLj3EES0_IjLj1EEEvPT_S4_i.has_recursion, 0
	.set _Z17testOperationsGPUI15HIP_vector_typeIjLj3EES0_IjLj1EEEvPT_S4_i.has_indirect_call, 0
	.section	.AMDGPU.csdata,"",@progbits
; Kernel info:
; codeLenInByte = 336
; TotalNumSgprs: 10
; NumVgprs: 10
; ScratchSize: 0
; MemoryBound: 0
; FloatMode: 240
; IeeeMode: 1
; LDSByteSize: 0 bytes/workgroup (compile time only)
; SGPRBlocks: 1
; VGPRBlocks: 2
; NumSGPRsForWavesPerEU: 10
; NumVGPRsForWavesPerEU: 10
; Occupancy: 10
; WaveLimiterHint : 0
; COMPUTE_PGM_RSRC2:SCRATCH_EN: 0
; COMPUTE_PGM_RSRC2:USER_SGPR: 6
; COMPUTE_PGM_RSRC2:TRAP_HANDLER: 0
; COMPUTE_PGM_RSRC2:TGID_X_EN: 1
; COMPUTE_PGM_RSRC2:TGID_Y_EN: 0
; COMPUTE_PGM_RSRC2:TGID_Z_EN: 0
; COMPUTE_PGM_RSRC2:TIDIG_COMP_CNT: 0
	.section	.text._Z17testOperationsGPUI15HIP_vector_typeIjLj4EES0_IjLj1EEEvPT_S4_i,"axG",@progbits,_Z17testOperationsGPUI15HIP_vector_typeIjLj4EES0_IjLj1EEEvPT_S4_i,comdat
	.protected	_Z17testOperationsGPUI15HIP_vector_typeIjLj4EES0_IjLj1EEEvPT_S4_i ; -- Begin function _Z17testOperationsGPUI15HIP_vector_typeIjLj4EES0_IjLj1EEEvPT_S4_i
	.globl	_Z17testOperationsGPUI15HIP_vector_typeIjLj4EES0_IjLj1EEEvPT_S4_i
	.p2align	8
	.type	_Z17testOperationsGPUI15HIP_vector_typeIjLj4EES0_IjLj1EEEvPT_S4_i,@function
_Z17testOperationsGPUI15HIP_vector_typeIjLj4EES0_IjLj1EEEvPT_S4_i: ; @_Z17testOperationsGPUI15HIP_vector_typeIjLj4EES0_IjLj1EEEvPT_S4_i
; %bb.0:
	s_load_dword s0, s[4:5], 0x10
	s_waitcnt lgkmcnt(0)
	v_cmp_ge_i32_e32 vcc, s0, v0
	s_and_saveexec_b64 s[0:1], vcc
	s_cbranch_execz .LBB31_4
; %bb.1:
	s_load_dwordx4 s[0:3], s[4:5], 0x0
	v_lshlrev_b32_e32 v7, 4, v0
	v_mov_b32_e32 v6, 0
	s_waitcnt lgkmcnt(0)
	global_load_dword v0, v7, s[2:3]
	global_load_dword v1, v7, s[0:1]
	v_mov_b32_e32 v3, s1
	v_add_co_u32_e32 v2, vcc, s0, v7
	v_addc_co_u32_e32 v3, vcc, 0, v3, vcc
	v_mov_b32_e32 v5, s3
	v_add_co_u32_e32 v4, vcc, s2, v7
	v_addc_co_u32_e32 v5, vcc, 0, v5, vcc
	s_waitcnt vmcnt(0)
	v_add3_u32 v0, v0, v1, 1
	global_store_dword v7, v0, s[0:1]
	global_load_dword v1, v7, s[2:3]
	s_waitcnt vmcnt(0)
	v_add_u32_e32 v8, 1, v1
	global_store_dword v7, v8, s[0:1] offset:4
	global_load_dword v0, v7, s[2:3] offset:4
	s_nop 0
	global_store_dword v7, v8, s[2:3]
	s_waitcnt vmcnt(1)
	global_store_dword v7, v0, s[0:1]
	v_cmp_ne_u32_e32 vcc, 0, v0
	s_and_saveexec_b64 s[0:1], vcc
	s_cbranch_execz .LBB31_3
; %bb.2:
	global_load_dword v6, v[4:5], off
	v_cvt_f32_u32_e32 v7, v0
	v_sub_u32_e32 v8, 0, v0
	v_rcp_iflag_f32_e32 v7, v7
	v_mul_f32_e32 v7, 0x4f7ffffe, v7
	v_cvt_u32_f32_e32 v7, v7
	v_mul_lo_u32 v8, v8, v7
	v_mul_hi_u32 v8, v7, v8
	v_add_u32_e32 v7, v7, v8
	s_waitcnt vmcnt(0)
	v_mul_hi_u32 v7, v6, v7
	v_mul_lo_u32 v8, v7, v0
	v_add_u32_e32 v9, 1, v7
	v_sub_u32_e32 v6, v6, v8
	v_cmp_ge_u32_e32 vcc, v6, v0
	v_sub_u32_e32 v8, v6, v0
	v_cndmask_b32_e32 v7, v7, v9, vcc
	v_cndmask_b32_e32 v6, v6, v8, vcc
	v_add_u32_e32 v8, 1, v7
	v_cmp_ge_u32_e32 vcc, v6, v0
	v_cndmask_b32_e32 v0, v7, v8, vcc
	global_store_dword v[4:5], v0, off
	global_load_dword v6, v[2:3], off
.LBB31_3:
	s_or_b64 exec, exec, s[0:1]
	global_load_dword v0, v[4:5], off offset:8
	s_waitcnt vmcnt(0)
	v_mul_lo_u32 v0, v0, v6
	global_store_dwordx2 v[2:3], v[0:1], off
	global_store_dword v[4:5], v0, off offset:12
	global_load_dword v0, v[4:5], off offset:4
	s_nop 0
	global_load_dword v1, v[2:3], off offset:12
	s_waitcnt vmcnt(0)
	v_sub_u32_e32 v0, v1, v0
	global_store_dword v[2:3], v0, off offset:12
.LBB31_4:
	s_endpgm
	.section	.rodata,"a",@progbits
	.p2align	6, 0x0
	.amdhsa_kernel _Z17testOperationsGPUI15HIP_vector_typeIjLj4EES0_IjLj1EEEvPT_S4_i
		.amdhsa_group_segment_fixed_size 0
		.amdhsa_private_segment_fixed_size 0
		.amdhsa_kernarg_size 20
		.amdhsa_user_sgpr_count 6
		.amdhsa_user_sgpr_private_segment_buffer 1
		.amdhsa_user_sgpr_dispatch_ptr 0
		.amdhsa_user_sgpr_queue_ptr 0
		.amdhsa_user_sgpr_kernarg_segment_ptr 1
		.amdhsa_user_sgpr_dispatch_id 0
		.amdhsa_user_sgpr_flat_scratch_init 0
		.amdhsa_user_sgpr_private_segment_size 0
		.amdhsa_uses_dynamic_stack 0
		.amdhsa_system_sgpr_private_segment_wavefront_offset 0
		.amdhsa_system_sgpr_workgroup_id_x 1
		.amdhsa_system_sgpr_workgroup_id_y 0
		.amdhsa_system_sgpr_workgroup_id_z 0
		.amdhsa_system_sgpr_workgroup_info 0
		.amdhsa_system_vgpr_workitem_id 0
		.amdhsa_next_free_vgpr 10
		.amdhsa_next_free_sgpr 6
		.amdhsa_reserve_vcc 1
		.amdhsa_reserve_flat_scratch 0
		.amdhsa_float_round_mode_32 0
		.amdhsa_float_round_mode_16_64 0
		.amdhsa_float_denorm_mode_32 3
		.amdhsa_float_denorm_mode_16_64 3
		.amdhsa_dx10_clamp 1
		.amdhsa_ieee_mode 1
		.amdhsa_fp16_overflow 0
		.amdhsa_exception_fp_ieee_invalid_op 0
		.amdhsa_exception_fp_denorm_src 0
		.amdhsa_exception_fp_ieee_div_zero 0
		.amdhsa_exception_fp_ieee_overflow 0
		.amdhsa_exception_fp_ieee_underflow 0
		.amdhsa_exception_fp_ieee_inexact 0
		.amdhsa_exception_int_div_zero 0
	.end_amdhsa_kernel
	.section	.text._Z17testOperationsGPUI15HIP_vector_typeIjLj4EES0_IjLj1EEEvPT_S4_i,"axG",@progbits,_Z17testOperationsGPUI15HIP_vector_typeIjLj4EES0_IjLj1EEEvPT_S4_i,comdat
.Lfunc_end31:
	.size	_Z17testOperationsGPUI15HIP_vector_typeIjLj4EES0_IjLj1EEEvPT_S4_i, .Lfunc_end31-_Z17testOperationsGPUI15HIP_vector_typeIjLj4EES0_IjLj1EEEvPT_S4_i
                                        ; -- End function
	.set _Z17testOperationsGPUI15HIP_vector_typeIjLj4EES0_IjLj1EEEvPT_S4_i.num_vgpr, 10
	.set _Z17testOperationsGPUI15HIP_vector_typeIjLj4EES0_IjLj1EEEvPT_S4_i.num_agpr, 0
	.set _Z17testOperationsGPUI15HIP_vector_typeIjLj4EES0_IjLj1EEEvPT_S4_i.numbered_sgpr, 6
	.set _Z17testOperationsGPUI15HIP_vector_typeIjLj4EES0_IjLj1EEEvPT_S4_i.num_named_barrier, 0
	.set _Z17testOperationsGPUI15HIP_vector_typeIjLj4EES0_IjLj1EEEvPT_S4_i.private_seg_size, 0
	.set _Z17testOperationsGPUI15HIP_vector_typeIjLj4EES0_IjLj1EEEvPT_S4_i.uses_vcc, 1
	.set _Z17testOperationsGPUI15HIP_vector_typeIjLj4EES0_IjLj1EEEvPT_S4_i.uses_flat_scratch, 0
	.set _Z17testOperationsGPUI15HIP_vector_typeIjLj4EES0_IjLj1EEEvPT_S4_i.has_dyn_sized_stack, 0
	.set _Z17testOperationsGPUI15HIP_vector_typeIjLj4EES0_IjLj1EEEvPT_S4_i.has_recursion, 0
	.set _Z17testOperationsGPUI15HIP_vector_typeIjLj4EES0_IjLj1EEEvPT_S4_i.has_indirect_call, 0
	.section	.AMDGPU.csdata,"",@progbits
; Kernel info:
; codeLenInByte = 376
; TotalNumSgprs: 10
; NumVgprs: 10
; ScratchSize: 0
; MemoryBound: 0
; FloatMode: 240
; IeeeMode: 1
; LDSByteSize: 0 bytes/workgroup (compile time only)
; SGPRBlocks: 1
; VGPRBlocks: 2
; NumSGPRsForWavesPerEU: 10
; NumVGPRsForWavesPerEU: 10
; Occupancy: 10
; WaveLimiterHint : 0
; COMPUTE_PGM_RSRC2:SCRATCH_EN: 0
; COMPUTE_PGM_RSRC2:USER_SGPR: 6
; COMPUTE_PGM_RSRC2:TRAP_HANDLER: 0
; COMPUTE_PGM_RSRC2:TGID_X_EN: 1
; COMPUTE_PGM_RSRC2:TGID_Y_EN: 0
; COMPUTE_PGM_RSRC2:TGID_Z_EN: 0
; COMPUTE_PGM_RSRC2:TIDIG_COMP_CNT: 0
	.section	.text._Z17testOperationsGPUI15HIP_vector_typeIhLj1EES1_EvPT_S3_i,"axG",@progbits,_Z17testOperationsGPUI15HIP_vector_typeIhLj1EES1_EvPT_S3_i,comdat
	.protected	_Z17testOperationsGPUI15HIP_vector_typeIhLj1EES1_EvPT_S3_i ; -- Begin function _Z17testOperationsGPUI15HIP_vector_typeIhLj1EES1_EvPT_S3_i
	.globl	_Z17testOperationsGPUI15HIP_vector_typeIhLj1EES1_EvPT_S3_i
	.p2align	8
	.type	_Z17testOperationsGPUI15HIP_vector_typeIhLj1EES1_EvPT_S3_i,@function
_Z17testOperationsGPUI15HIP_vector_typeIhLj1EES1_EvPT_S3_i: ; @_Z17testOperationsGPUI15HIP_vector_typeIhLj1EES1_EvPT_S3_i
; %bb.0:
	s_load_dword s0, s[4:5], 0x10
	s_waitcnt lgkmcnt(0)
	v_cmp_ge_i32_e32 vcc, s0, v0
	s_and_saveexec_b64 s[0:1], vcc
	s_cbranch_execz .LBB32_2
; %bb.1:
	s_load_dwordx4 s[0:3], s[4:5], 0x0
	s_waitcnt lgkmcnt(0)
	global_load_ubyte v1, v0, s[2:3]
	global_load_ubyte v2, v0, s[0:1]
	s_waitcnt vmcnt(0)
	v_add_u16_e32 v1, v1, v2
	v_add_u16_e32 v1, 1, v1
	global_store_byte v0, v1, s[0:1]
	global_load_ubyte v1, v0, s[2:3]
	s_waitcnt vmcnt(0)
	v_add_u16_e32 v1, 1, v1
	global_store_byte v0, v1, s[2:3]
.LBB32_2:
	s_endpgm
	.section	.rodata,"a",@progbits
	.p2align	6, 0x0
	.amdhsa_kernel _Z17testOperationsGPUI15HIP_vector_typeIhLj1EES1_EvPT_S3_i
		.amdhsa_group_segment_fixed_size 0
		.amdhsa_private_segment_fixed_size 0
		.amdhsa_kernarg_size 20
		.amdhsa_user_sgpr_count 6
		.amdhsa_user_sgpr_private_segment_buffer 1
		.amdhsa_user_sgpr_dispatch_ptr 0
		.amdhsa_user_sgpr_queue_ptr 0
		.amdhsa_user_sgpr_kernarg_segment_ptr 1
		.amdhsa_user_sgpr_dispatch_id 0
		.amdhsa_user_sgpr_flat_scratch_init 0
		.amdhsa_user_sgpr_private_segment_size 0
		.amdhsa_uses_dynamic_stack 0
		.amdhsa_system_sgpr_private_segment_wavefront_offset 0
		.amdhsa_system_sgpr_workgroup_id_x 1
		.amdhsa_system_sgpr_workgroup_id_y 0
		.amdhsa_system_sgpr_workgroup_id_z 0
		.amdhsa_system_sgpr_workgroup_info 0
		.amdhsa_system_vgpr_workitem_id 0
		.amdhsa_next_free_vgpr 3
		.amdhsa_next_free_sgpr 6
		.amdhsa_reserve_vcc 1
		.amdhsa_reserve_flat_scratch 0
		.amdhsa_float_round_mode_32 0
		.amdhsa_float_round_mode_16_64 0
		.amdhsa_float_denorm_mode_32 3
		.amdhsa_float_denorm_mode_16_64 3
		.amdhsa_dx10_clamp 1
		.amdhsa_ieee_mode 1
		.amdhsa_fp16_overflow 0
		.amdhsa_exception_fp_ieee_invalid_op 0
		.amdhsa_exception_fp_denorm_src 0
		.amdhsa_exception_fp_ieee_div_zero 0
		.amdhsa_exception_fp_ieee_overflow 0
		.amdhsa_exception_fp_ieee_underflow 0
		.amdhsa_exception_fp_ieee_inexact 0
		.amdhsa_exception_int_div_zero 0
	.end_amdhsa_kernel
	.section	.text._Z17testOperationsGPUI15HIP_vector_typeIhLj1EES1_EvPT_S3_i,"axG",@progbits,_Z17testOperationsGPUI15HIP_vector_typeIhLj1EES1_EvPT_S3_i,comdat
.Lfunc_end32:
	.size	_Z17testOperationsGPUI15HIP_vector_typeIhLj1EES1_EvPT_S3_i, .Lfunc_end32-_Z17testOperationsGPUI15HIP_vector_typeIhLj1EES1_EvPT_S3_i
                                        ; -- End function
	.set _Z17testOperationsGPUI15HIP_vector_typeIhLj1EES1_EvPT_S3_i.num_vgpr, 3
	.set _Z17testOperationsGPUI15HIP_vector_typeIhLj1EES1_EvPT_S3_i.num_agpr, 0
	.set _Z17testOperationsGPUI15HIP_vector_typeIhLj1EES1_EvPT_S3_i.numbered_sgpr, 6
	.set _Z17testOperationsGPUI15HIP_vector_typeIhLj1EES1_EvPT_S3_i.num_named_barrier, 0
	.set _Z17testOperationsGPUI15HIP_vector_typeIhLj1EES1_EvPT_S3_i.private_seg_size, 0
	.set _Z17testOperationsGPUI15HIP_vector_typeIhLj1EES1_EvPT_S3_i.uses_vcc, 1
	.set _Z17testOperationsGPUI15HIP_vector_typeIhLj1EES1_EvPT_S3_i.uses_flat_scratch, 0
	.set _Z17testOperationsGPUI15HIP_vector_typeIhLj1EES1_EvPT_S3_i.has_dyn_sized_stack, 0
	.set _Z17testOperationsGPUI15HIP_vector_typeIhLj1EES1_EvPT_S3_i.has_recursion, 0
	.set _Z17testOperationsGPUI15HIP_vector_typeIhLj1EES1_EvPT_S3_i.has_indirect_call, 0
	.section	.AMDGPU.csdata,"",@progbits
; Kernel info:
; codeLenInByte = 100
; TotalNumSgprs: 10
; NumVgprs: 3
; ScratchSize: 0
; MemoryBound: 0
; FloatMode: 240
; IeeeMode: 1
; LDSByteSize: 0 bytes/workgroup (compile time only)
; SGPRBlocks: 1
; VGPRBlocks: 0
; NumSGPRsForWavesPerEU: 10
; NumVGPRsForWavesPerEU: 3
; Occupancy: 10
; WaveLimiterHint : 0
; COMPUTE_PGM_RSRC2:SCRATCH_EN: 0
; COMPUTE_PGM_RSRC2:USER_SGPR: 6
; COMPUTE_PGM_RSRC2:TRAP_HANDLER: 0
; COMPUTE_PGM_RSRC2:TGID_X_EN: 1
; COMPUTE_PGM_RSRC2:TGID_Y_EN: 0
; COMPUTE_PGM_RSRC2:TGID_Z_EN: 0
; COMPUTE_PGM_RSRC2:TIDIG_COMP_CNT: 0
	.section	.text._Z17testOperationsGPUI15HIP_vector_typeIhLj2EES0_IhLj1EEEvPT_S4_i,"axG",@progbits,_Z17testOperationsGPUI15HIP_vector_typeIhLj2EES0_IhLj1EEEvPT_S4_i,comdat
	.protected	_Z17testOperationsGPUI15HIP_vector_typeIhLj2EES0_IhLj1EEEvPT_S4_i ; -- Begin function _Z17testOperationsGPUI15HIP_vector_typeIhLj2EES0_IhLj1EEEvPT_S4_i
	.globl	_Z17testOperationsGPUI15HIP_vector_typeIhLj2EES0_IhLj1EEEvPT_S4_i
	.p2align	8
	.type	_Z17testOperationsGPUI15HIP_vector_typeIhLj2EES0_IhLj1EEEvPT_S4_i,@function
_Z17testOperationsGPUI15HIP_vector_typeIhLj2EES0_IhLj1EEEvPT_S4_i: ; @_Z17testOperationsGPUI15HIP_vector_typeIhLj2EES0_IhLj1EEEvPT_S4_i
; %bb.0:
	s_load_dword s0, s[4:5], 0x10
	s_waitcnt lgkmcnt(0)
	v_cmp_ge_i32_e32 vcc, s0, v0
	s_and_saveexec_b64 s[0:1], vcc
	s_cbranch_execz .LBB33_2
; %bb.1:
	s_load_dwordx4 s[0:3], s[4:5], 0x0
	v_lshlrev_b32_e32 v0, 1, v0
	s_waitcnt lgkmcnt(0)
	global_load_ubyte v1, v0, s[2:3]
	global_load_ubyte v2, v0, s[0:1]
	s_waitcnt vmcnt(0)
	v_add_u16_e32 v1, v1, v2
	v_add_u16_e32 v1, 1, v1
	global_store_byte v0, v1, s[0:1]
	global_load_ubyte v1, v0, s[2:3]
	s_waitcnt vmcnt(0)
	v_add_u16_e32 v1, 1, v1
	global_store_byte v0, v1, s[0:1] offset:1
	global_load_ubyte v2, v0, s[2:3] offset:1
	s_nop 0
	global_store_byte v0, v1, s[2:3]
	s_waitcnt vmcnt(1)
	global_store_byte v0, v2, s[0:1]
.LBB33_2:
	s_endpgm
	.section	.rodata,"a",@progbits
	.p2align	6, 0x0
	.amdhsa_kernel _Z17testOperationsGPUI15HIP_vector_typeIhLj2EES0_IhLj1EEEvPT_S4_i
		.amdhsa_group_segment_fixed_size 0
		.amdhsa_private_segment_fixed_size 0
		.amdhsa_kernarg_size 20
		.amdhsa_user_sgpr_count 6
		.amdhsa_user_sgpr_private_segment_buffer 1
		.amdhsa_user_sgpr_dispatch_ptr 0
		.amdhsa_user_sgpr_queue_ptr 0
		.amdhsa_user_sgpr_kernarg_segment_ptr 1
		.amdhsa_user_sgpr_dispatch_id 0
		.amdhsa_user_sgpr_flat_scratch_init 0
		.amdhsa_user_sgpr_private_segment_size 0
		.amdhsa_uses_dynamic_stack 0
		.amdhsa_system_sgpr_private_segment_wavefront_offset 0
		.amdhsa_system_sgpr_workgroup_id_x 1
		.amdhsa_system_sgpr_workgroup_id_y 0
		.amdhsa_system_sgpr_workgroup_id_z 0
		.amdhsa_system_sgpr_workgroup_info 0
		.amdhsa_system_vgpr_workitem_id 0
		.amdhsa_next_free_vgpr 3
		.amdhsa_next_free_sgpr 6
		.amdhsa_reserve_vcc 1
		.amdhsa_reserve_flat_scratch 0
		.amdhsa_float_round_mode_32 0
		.amdhsa_float_round_mode_16_64 0
		.amdhsa_float_denorm_mode_32 3
		.amdhsa_float_denorm_mode_16_64 3
		.amdhsa_dx10_clamp 1
		.amdhsa_ieee_mode 1
		.amdhsa_fp16_overflow 0
		.amdhsa_exception_fp_ieee_invalid_op 0
		.amdhsa_exception_fp_denorm_src 0
		.amdhsa_exception_fp_ieee_div_zero 0
		.amdhsa_exception_fp_ieee_overflow 0
		.amdhsa_exception_fp_ieee_underflow 0
		.amdhsa_exception_fp_ieee_inexact 0
		.amdhsa_exception_int_div_zero 0
	.end_amdhsa_kernel
	.section	.text._Z17testOperationsGPUI15HIP_vector_typeIhLj2EES0_IhLj1EEEvPT_S4_i,"axG",@progbits,_Z17testOperationsGPUI15HIP_vector_typeIhLj2EES0_IhLj1EEEvPT_S4_i,comdat
.Lfunc_end33:
	.size	_Z17testOperationsGPUI15HIP_vector_typeIhLj2EES0_IhLj1EEEvPT_S4_i, .Lfunc_end33-_Z17testOperationsGPUI15HIP_vector_typeIhLj2EES0_IhLj1EEEvPT_S4_i
                                        ; -- End function
	.set _Z17testOperationsGPUI15HIP_vector_typeIhLj2EES0_IhLj1EEEvPT_S4_i.num_vgpr, 3
	.set _Z17testOperationsGPUI15HIP_vector_typeIhLj2EES0_IhLj1EEEvPT_S4_i.num_agpr, 0
	.set _Z17testOperationsGPUI15HIP_vector_typeIhLj2EES0_IhLj1EEEvPT_S4_i.numbered_sgpr, 6
	.set _Z17testOperationsGPUI15HIP_vector_typeIhLj2EES0_IhLj1EEEvPT_S4_i.num_named_barrier, 0
	.set _Z17testOperationsGPUI15HIP_vector_typeIhLj2EES0_IhLj1EEEvPT_S4_i.private_seg_size, 0
	.set _Z17testOperationsGPUI15HIP_vector_typeIhLj2EES0_IhLj1EEEvPT_S4_i.uses_vcc, 1
	.set _Z17testOperationsGPUI15HIP_vector_typeIhLj2EES0_IhLj1EEEvPT_S4_i.uses_flat_scratch, 0
	.set _Z17testOperationsGPUI15HIP_vector_typeIhLj2EES0_IhLj1EEEvPT_S4_i.has_dyn_sized_stack, 0
	.set _Z17testOperationsGPUI15HIP_vector_typeIhLj2EES0_IhLj1EEEvPT_S4_i.has_recursion, 0
	.set _Z17testOperationsGPUI15HIP_vector_typeIhLj2EES0_IhLj1EEEvPT_S4_i.has_indirect_call, 0
	.section	.AMDGPU.csdata,"",@progbits
; Kernel info:
; codeLenInByte = 136
; TotalNumSgprs: 10
; NumVgprs: 3
; ScratchSize: 0
; MemoryBound: 0
; FloatMode: 240
; IeeeMode: 1
; LDSByteSize: 0 bytes/workgroup (compile time only)
; SGPRBlocks: 1
; VGPRBlocks: 0
; NumSGPRsForWavesPerEU: 10
; NumVGPRsForWavesPerEU: 3
; Occupancy: 10
; WaveLimiterHint : 0
; COMPUTE_PGM_RSRC2:SCRATCH_EN: 0
; COMPUTE_PGM_RSRC2:USER_SGPR: 6
; COMPUTE_PGM_RSRC2:TRAP_HANDLER: 0
; COMPUTE_PGM_RSRC2:TGID_X_EN: 1
; COMPUTE_PGM_RSRC2:TGID_Y_EN: 0
; COMPUTE_PGM_RSRC2:TGID_Z_EN: 0
; COMPUTE_PGM_RSRC2:TIDIG_COMP_CNT: 0
	.section	.text._Z17testOperationsGPUI15HIP_vector_typeIhLj3EES0_IhLj1EEEvPT_S4_i,"axG",@progbits,_Z17testOperationsGPUI15HIP_vector_typeIhLj3EES0_IhLj1EEEvPT_S4_i,comdat
	.protected	_Z17testOperationsGPUI15HIP_vector_typeIhLj3EES0_IhLj1EEEvPT_S4_i ; -- Begin function _Z17testOperationsGPUI15HIP_vector_typeIhLj3EES0_IhLj1EEEvPT_S4_i
	.globl	_Z17testOperationsGPUI15HIP_vector_typeIhLj3EES0_IhLj1EEEvPT_S4_i
	.p2align	8
	.type	_Z17testOperationsGPUI15HIP_vector_typeIhLj3EES0_IhLj1EEEvPT_S4_i,@function
_Z17testOperationsGPUI15HIP_vector_typeIhLj3EES0_IhLj1EEEvPT_S4_i: ; @_Z17testOperationsGPUI15HIP_vector_typeIhLj3EES0_IhLj1EEEvPT_S4_i
; %bb.0:
	s_load_dword s0, s[4:5], 0x10
	s_waitcnt lgkmcnt(0)
	v_cmp_ge_i32_e32 vcc, s0, v0
	s_and_saveexec_b64 s[0:1], vcc
	s_cbranch_execz .LBB34_4
; %bb.1:
	s_load_dwordx4 s[0:3], s[4:5], 0x0
	s_waitcnt lgkmcnt(0)
	v_mov_b32_e32 v1, s2
	v_mov_b32_e32 v2, s3
	;; [unrolled: 1-line block ×4, first 2 shown]
	v_mad_u64_u32 v[2:3], s[0:1], v0, 3, v[1:2]
	v_mad_u64_u32 v[0:1], s[0:1], v0, 3, v[4:5]
	global_load_ubyte v4, v[2:3], off
	global_load_ubyte v5, v[0:1], off
	s_waitcnt vmcnt(0)
	v_add_u16_e32 v4, v4, v5
	v_add_u16_e32 v4, 1, v4
	global_store_byte v[0:1], v4, off
	global_load_ubyte v4, v[2:3], off
	v_mov_b32_e32 v5, 0
	s_waitcnt vmcnt(0)
	v_add_u16_e32 v7, 1, v4
	global_store_byte v[0:1], v7, off offset:1
	global_load_ubyte v6, v[2:3], off offset:1
	s_nop 0
	global_store_byte v[2:3], v7, off
	s_waitcnt vmcnt(1)
	global_store_byte v[0:1], v6, off
	v_cmp_ne_u16_e32 vcc, 0, v6
	s_and_saveexec_b64 s[0:1], vcc
	s_cbranch_execz .LBB34_3
; %bb.2:
	global_load_ubyte v5, v[2:3], off
	v_cvt_f32_ubyte0_e32 v6, v6
	v_rcp_iflag_f32_e32 v7, v6
	s_waitcnt vmcnt(0)
	v_cvt_f32_ubyte0_e32 v5, v5
	v_mul_f32_e32 v7, v5, v7
	v_trunc_f32_e32 v7, v7
	v_cvt_u32_f32_e32 v8, v7
	v_mad_f32 v5, -v7, v6, v5
	v_cmp_ge_f32_e64 vcc, |v5|, v6
	v_addc_co_u32_e32 v5, vcc, 0, v8, vcc
	global_store_byte v[2:3], v5, off
	global_load_ubyte v5, v[0:1], off
.LBB34_3:
	s_or_b64 exec, exec, s[0:1]
	global_load_ubyte v2, v[2:3], off offset:2
	v_lshlrev_b16_e32 v3, 8, v4
	s_waitcnt vmcnt(0)
	v_mul_lo_u16_e32 v2, v2, v5
	v_or_b32_sdwa v2, v2, v3 dst_sel:DWORD dst_unused:UNUSED_PAD src0_sel:BYTE_0 src1_sel:DWORD
	global_store_short v[0:1], v2, off
.LBB34_4:
	s_endpgm
	.section	.rodata,"a",@progbits
	.p2align	6, 0x0
	.amdhsa_kernel _Z17testOperationsGPUI15HIP_vector_typeIhLj3EES0_IhLj1EEEvPT_S4_i
		.amdhsa_group_segment_fixed_size 0
		.amdhsa_private_segment_fixed_size 0
		.amdhsa_kernarg_size 20
		.amdhsa_user_sgpr_count 6
		.amdhsa_user_sgpr_private_segment_buffer 1
		.amdhsa_user_sgpr_dispatch_ptr 0
		.amdhsa_user_sgpr_queue_ptr 0
		.amdhsa_user_sgpr_kernarg_segment_ptr 1
		.amdhsa_user_sgpr_dispatch_id 0
		.amdhsa_user_sgpr_flat_scratch_init 0
		.amdhsa_user_sgpr_private_segment_size 0
		.amdhsa_uses_dynamic_stack 0
		.amdhsa_system_sgpr_private_segment_wavefront_offset 0
		.amdhsa_system_sgpr_workgroup_id_x 1
		.amdhsa_system_sgpr_workgroup_id_y 0
		.amdhsa_system_sgpr_workgroup_id_z 0
		.amdhsa_system_sgpr_workgroup_info 0
		.amdhsa_system_vgpr_workitem_id 0
		.amdhsa_next_free_vgpr 9
		.amdhsa_next_free_sgpr 6
		.amdhsa_reserve_vcc 1
		.amdhsa_reserve_flat_scratch 0
		.amdhsa_float_round_mode_32 0
		.amdhsa_float_round_mode_16_64 0
		.amdhsa_float_denorm_mode_32 3
		.amdhsa_float_denorm_mode_16_64 3
		.amdhsa_dx10_clamp 1
		.amdhsa_ieee_mode 1
		.amdhsa_fp16_overflow 0
		.amdhsa_exception_fp_ieee_invalid_op 0
		.amdhsa_exception_fp_denorm_src 0
		.amdhsa_exception_fp_ieee_div_zero 0
		.amdhsa_exception_fp_ieee_overflow 0
		.amdhsa_exception_fp_ieee_underflow 0
		.amdhsa_exception_fp_ieee_inexact 0
		.amdhsa_exception_int_div_zero 0
	.end_amdhsa_kernel
	.section	.text._Z17testOperationsGPUI15HIP_vector_typeIhLj3EES0_IhLj1EEEvPT_S4_i,"axG",@progbits,_Z17testOperationsGPUI15HIP_vector_typeIhLj3EES0_IhLj1EEEvPT_S4_i,comdat
.Lfunc_end34:
	.size	_Z17testOperationsGPUI15HIP_vector_typeIhLj3EES0_IhLj1EEEvPT_S4_i, .Lfunc_end34-_Z17testOperationsGPUI15HIP_vector_typeIhLj3EES0_IhLj1EEEvPT_S4_i
                                        ; -- End function
	.set _Z17testOperationsGPUI15HIP_vector_typeIhLj3EES0_IhLj1EEEvPT_S4_i.num_vgpr, 9
	.set _Z17testOperationsGPUI15HIP_vector_typeIhLj3EES0_IhLj1EEEvPT_S4_i.num_agpr, 0
	.set _Z17testOperationsGPUI15HIP_vector_typeIhLj3EES0_IhLj1EEEvPT_S4_i.numbered_sgpr, 6
	.set _Z17testOperationsGPUI15HIP_vector_typeIhLj3EES0_IhLj1EEEvPT_S4_i.num_named_barrier, 0
	.set _Z17testOperationsGPUI15HIP_vector_typeIhLj3EES0_IhLj1EEEvPT_S4_i.private_seg_size, 0
	.set _Z17testOperationsGPUI15HIP_vector_typeIhLj3EES0_IhLj1EEEvPT_S4_i.uses_vcc, 1
	.set _Z17testOperationsGPUI15HIP_vector_typeIhLj3EES0_IhLj1EEEvPT_S4_i.uses_flat_scratch, 0
	.set _Z17testOperationsGPUI15HIP_vector_typeIhLj3EES0_IhLj1EEEvPT_S4_i.has_dyn_sized_stack, 0
	.set _Z17testOperationsGPUI15HIP_vector_typeIhLj3EES0_IhLj1EEEvPT_S4_i.has_recursion, 0
	.set _Z17testOperationsGPUI15HIP_vector_typeIhLj3EES0_IhLj1EEEvPT_S4_i.has_indirect_call, 0
	.section	.AMDGPU.csdata,"",@progbits
; Kernel info:
; codeLenInByte = 292
; TotalNumSgprs: 10
; NumVgprs: 9
; ScratchSize: 0
; MemoryBound: 0
; FloatMode: 240
; IeeeMode: 1
; LDSByteSize: 0 bytes/workgroup (compile time only)
; SGPRBlocks: 1
; VGPRBlocks: 2
; NumSGPRsForWavesPerEU: 10
; NumVGPRsForWavesPerEU: 9
; Occupancy: 10
; WaveLimiterHint : 0
; COMPUTE_PGM_RSRC2:SCRATCH_EN: 0
; COMPUTE_PGM_RSRC2:USER_SGPR: 6
; COMPUTE_PGM_RSRC2:TRAP_HANDLER: 0
; COMPUTE_PGM_RSRC2:TGID_X_EN: 1
; COMPUTE_PGM_RSRC2:TGID_Y_EN: 0
; COMPUTE_PGM_RSRC2:TGID_Z_EN: 0
; COMPUTE_PGM_RSRC2:TIDIG_COMP_CNT: 0
	.section	.text._Z17testOperationsGPUI15HIP_vector_typeIhLj4EES0_IhLj1EEEvPT_S4_i,"axG",@progbits,_Z17testOperationsGPUI15HIP_vector_typeIhLj4EES0_IhLj1EEEvPT_S4_i,comdat
	.protected	_Z17testOperationsGPUI15HIP_vector_typeIhLj4EES0_IhLj1EEEvPT_S4_i ; -- Begin function _Z17testOperationsGPUI15HIP_vector_typeIhLj4EES0_IhLj1EEEvPT_S4_i
	.globl	_Z17testOperationsGPUI15HIP_vector_typeIhLj4EES0_IhLj1EEEvPT_S4_i
	.p2align	8
	.type	_Z17testOperationsGPUI15HIP_vector_typeIhLj4EES0_IhLj1EEEvPT_S4_i,@function
_Z17testOperationsGPUI15HIP_vector_typeIhLj4EES0_IhLj1EEEvPT_S4_i: ; @_Z17testOperationsGPUI15HIP_vector_typeIhLj4EES0_IhLj1EEEvPT_S4_i
; %bb.0:
	s_load_dword s0, s[4:5], 0x10
	s_waitcnt lgkmcnt(0)
	v_cmp_ge_i32_e32 vcc, s0, v0
	s_and_saveexec_b64 s[0:1], vcc
	s_cbranch_execz .LBB35_4
; %bb.1:
	s_load_dwordx4 s[0:3], s[4:5], 0x0
	v_lshlrev_b32_e32 v7, 2, v0
	v_mov_b32_e32 v5, 0
	s_waitcnt lgkmcnt(0)
	global_load_ubyte v0, v7, s[2:3]
	global_load_ubyte v1, v7, s[0:1]
	v_mov_b32_e32 v3, s3
	s_waitcnt vmcnt(0)
	v_add_u16_e32 v0, v0, v1
	v_add_u16_e32 v0, 1, v0
	global_store_byte v7, v0, s[0:1]
	global_load_ubyte v4, v7, s[2:3]
	v_mov_b32_e32 v1, s1
	v_add_co_u32_e32 v0, vcc, s0, v7
	v_addc_co_u32_e32 v1, vcc, 0, v1, vcc
	v_add_co_u32_e32 v2, vcc, s2, v7
	v_addc_co_u32_e32 v3, vcc, 0, v3, vcc
	s_waitcnt vmcnt(0)
	v_add_u16_e32 v8, 1, v4
	global_store_byte v7, v8, s[0:1] offset:1
	global_load_ubyte v6, v7, s[2:3] offset:1
	s_nop 0
	global_store_byte v7, v8, s[2:3]
	s_waitcnt vmcnt(1)
	global_store_byte v7, v6, s[0:1]
	v_cmp_ne_u16_e32 vcc, 0, v6
	s_and_saveexec_b64 s[0:1], vcc
	s_cbranch_execz .LBB35_3
; %bb.2:
	global_load_ubyte v5, v[2:3], off
	v_cvt_f32_ubyte0_e32 v6, v6
	v_rcp_iflag_f32_e32 v7, v6
	s_waitcnt vmcnt(0)
	v_cvt_f32_ubyte0_e32 v5, v5
	v_mul_f32_e32 v7, v5, v7
	v_trunc_f32_e32 v7, v7
	v_cvt_u32_f32_e32 v8, v7
	v_mad_f32 v5, -v7, v6, v5
	v_cmp_ge_f32_e64 vcc, |v5|, v6
	v_addc_co_u32_e32 v5, vcc, 0, v8, vcc
	global_store_byte v[2:3], v5, off
	global_load_ubyte v5, v[0:1], off
.LBB35_3:
	s_or_b64 exec, exec, s[0:1]
	global_load_ubyte v6, v[2:3], off offset:2
	v_lshlrev_b16_e32 v4, 8, v4
	s_waitcnt vmcnt(0)
	v_mul_lo_u16_e32 v5, v6, v5
	v_or_b32_sdwa v4, v5, v4 dst_sel:DWORD dst_unused:UNUSED_PAD src0_sel:BYTE_0 src1_sel:DWORD
	global_store_short v[0:1], v4, off
	global_store_byte v[2:3], v5, off offset:3
	global_load_ubyte v4, v[2:3], off offset:1
	s_nop 0
	global_load_ubyte v5, v[0:1], off offset:3
	s_waitcnt vmcnt(0)
	v_sub_u16_e32 v2, v5, v4
	global_store_byte v[0:1], v2, off offset:3
.LBB35_4:
	s_endpgm
	.section	.rodata,"a",@progbits
	.p2align	6, 0x0
	.amdhsa_kernel _Z17testOperationsGPUI15HIP_vector_typeIhLj4EES0_IhLj1EEEvPT_S4_i
		.amdhsa_group_segment_fixed_size 0
		.amdhsa_private_segment_fixed_size 0
		.amdhsa_kernarg_size 20
		.amdhsa_user_sgpr_count 6
		.amdhsa_user_sgpr_private_segment_buffer 1
		.amdhsa_user_sgpr_dispatch_ptr 0
		.amdhsa_user_sgpr_queue_ptr 0
		.amdhsa_user_sgpr_kernarg_segment_ptr 1
		.amdhsa_user_sgpr_dispatch_id 0
		.amdhsa_user_sgpr_flat_scratch_init 0
		.amdhsa_user_sgpr_private_segment_size 0
		.amdhsa_uses_dynamic_stack 0
		.amdhsa_system_sgpr_private_segment_wavefront_offset 0
		.amdhsa_system_sgpr_workgroup_id_x 1
		.amdhsa_system_sgpr_workgroup_id_y 0
		.amdhsa_system_sgpr_workgroup_id_z 0
		.amdhsa_system_sgpr_workgroup_info 0
		.amdhsa_system_vgpr_workitem_id 0
		.amdhsa_next_free_vgpr 9
		.amdhsa_next_free_sgpr 6
		.amdhsa_reserve_vcc 1
		.amdhsa_reserve_flat_scratch 0
		.amdhsa_float_round_mode_32 0
		.amdhsa_float_round_mode_16_64 0
		.amdhsa_float_denorm_mode_32 3
		.amdhsa_float_denorm_mode_16_64 3
		.amdhsa_dx10_clamp 1
		.amdhsa_ieee_mode 1
		.amdhsa_fp16_overflow 0
		.amdhsa_exception_fp_ieee_invalid_op 0
		.amdhsa_exception_fp_denorm_src 0
		.amdhsa_exception_fp_ieee_div_zero 0
		.amdhsa_exception_fp_ieee_overflow 0
		.amdhsa_exception_fp_ieee_underflow 0
		.amdhsa_exception_fp_ieee_inexact 0
		.amdhsa_exception_int_div_zero 0
	.end_amdhsa_kernel
	.section	.text._Z17testOperationsGPUI15HIP_vector_typeIhLj4EES0_IhLj1EEEvPT_S4_i,"axG",@progbits,_Z17testOperationsGPUI15HIP_vector_typeIhLj4EES0_IhLj1EEEvPT_S4_i,comdat
.Lfunc_end35:
	.size	_Z17testOperationsGPUI15HIP_vector_typeIhLj4EES0_IhLj1EEEvPT_S4_i, .Lfunc_end35-_Z17testOperationsGPUI15HIP_vector_typeIhLj4EES0_IhLj1EEEvPT_S4_i
                                        ; -- End function
	.set _Z17testOperationsGPUI15HIP_vector_typeIhLj4EES0_IhLj1EEEvPT_S4_i.num_vgpr, 9
	.set _Z17testOperationsGPUI15HIP_vector_typeIhLj4EES0_IhLj1EEEvPT_S4_i.num_agpr, 0
	.set _Z17testOperationsGPUI15HIP_vector_typeIhLj4EES0_IhLj1EEEvPT_S4_i.numbered_sgpr, 6
	.set _Z17testOperationsGPUI15HIP_vector_typeIhLj4EES0_IhLj1EEEvPT_S4_i.num_named_barrier, 0
	.set _Z17testOperationsGPUI15HIP_vector_typeIhLj4EES0_IhLj1EEEvPT_S4_i.private_seg_size, 0
	.set _Z17testOperationsGPUI15HIP_vector_typeIhLj4EES0_IhLj1EEEvPT_S4_i.uses_vcc, 1
	.set _Z17testOperationsGPUI15HIP_vector_typeIhLj4EES0_IhLj1EEEvPT_S4_i.uses_flat_scratch, 0
	.set _Z17testOperationsGPUI15HIP_vector_typeIhLj4EES0_IhLj1EEEvPT_S4_i.has_dyn_sized_stack, 0
	.set _Z17testOperationsGPUI15HIP_vector_typeIhLj4EES0_IhLj1EEEvPT_S4_i.has_recursion, 0
	.set _Z17testOperationsGPUI15HIP_vector_typeIhLj4EES0_IhLj1EEEvPT_S4_i.has_indirect_call, 0
	.section	.AMDGPU.csdata,"",@progbits
; Kernel info:
; codeLenInByte = 332
; TotalNumSgprs: 10
; NumVgprs: 9
; ScratchSize: 0
; MemoryBound: 0
; FloatMode: 240
; IeeeMode: 1
; LDSByteSize: 0 bytes/workgroup (compile time only)
; SGPRBlocks: 1
; VGPRBlocks: 2
; NumSGPRsForWavesPerEU: 10
; NumVGPRsForWavesPerEU: 9
; Occupancy: 10
; WaveLimiterHint : 0
; COMPUTE_PGM_RSRC2:SCRATCH_EN: 0
; COMPUTE_PGM_RSRC2:USER_SGPR: 6
; COMPUTE_PGM_RSRC2:TRAP_HANDLER: 0
; COMPUTE_PGM_RSRC2:TGID_X_EN: 1
; COMPUTE_PGM_RSRC2:TGID_Y_EN: 0
; COMPUTE_PGM_RSRC2:TGID_Z_EN: 0
; COMPUTE_PGM_RSRC2:TIDIG_COMP_CNT: 0
	.section	.text._Z17testOperationsGPUI15HIP_vector_typeImLj1EES1_EvPT_S3_i,"axG",@progbits,_Z17testOperationsGPUI15HIP_vector_typeImLj1EES1_EvPT_S3_i,comdat
	.protected	_Z17testOperationsGPUI15HIP_vector_typeImLj1EES1_EvPT_S3_i ; -- Begin function _Z17testOperationsGPUI15HIP_vector_typeImLj1EES1_EvPT_S3_i
	.globl	_Z17testOperationsGPUI15HIP_vector_typeImLj1EES1_EvPT_S3_i
	.p2align	8
	.type	_Z17testOperationsGPUI15HIP_vector_typeImLj1EES1_EvPT_S3_i,@function
_Z17testOperationsGPUI15HIP_vector_typeImLj1EES1_EvPT_S3_i: ; @_Z17testOperationsGPUI15HIP_vector_typeImLj1EES1_EvPT_S3_i
; %bb.0:
	s_load_dword s0, s[4:5], 0x10
	s_waitcnt lgkmcnt(0)
	v_cmp_ge_i32_e32 vcc, s0, v0
	s_and_saveexec_b64 s[0:1], vcc
	s_cbranch_execz .LBB36_2
; %bb.1:
	s_load_dwordx4 s[0:3], s[4:5], 0x0
	v_lshlrev_b32_e32 v4, 3, v0
	s_waitcnt lgkmcnt(0)
	global_load_dwordx2 v[0:1], v4, s[2:3]
	global_load_dwordx2 v[2:3], v4, s[0:1]
	s_waitcnt vmcnt(0)
	v_add_co_u32_e32 v0, vcc, v0, v2
	v_addc_co_u32_e32 v1, vcc, v1, v3, vcc
	v_add_co_u32_e32 v0, vcc, 1, v0
	v_addc_co_u32_e32 v1, vcc, 0, v1, vcc
	global_store_dwordx2 v4, v[0:1], s[0:1]
	global_load_dwordx2 v[0:1], v4, s[2:3]
	s_waitcnt vmcnt(0)
	v_add_co_u32_e32 v0, vcc, 1, v0
	v_addc_co_u32_e32 v1, vcc, 0, v1, vcc
	global_store_dwordx2 v4, v[0:1], s[2:3]
.LBB36_2:
	s_endpgm
	.section	.rodata,"a",@progbits
	.p2align	6, 0x0
	.amdhsa_kernel _Z17testOperationsGPUI15HIP_vector_typeImLj1EES1_EvPT_S3_i
		.amdhsa_group_segment_fixed_size 0
		.amdhsa_private_segment_fixed_size 0
		.amdhsa_kernarg_size 20
		.amdhsa_user_sgpr_count 6
		.amdhsa_user_sgpr_private_segment_buffer 1
		.amdhsa_user_sgpr_dispatch_ptr 0
		.amdhsa_user_sgpr_queue_ptr 0
		.amdhsa_user_sgpr_kernarg_segment_ptr 1
		.amdhsa_user_sgpr_dispatch_id 0
		.amdhsa_user_sgpr_flat_scratch_init 0
		.amdhsa_user_sgpr_private_segment_size 0
		.amdhsa_uses_dynamic_stack 0
		.amdhsa_system_sgpr_private_segment_wavefront_offset 0
		.amdhsa_system_sgpr_workgroup_id_x 1
		.amdhsa_system_sgpr_workgroup_id_y 0
		.amdhsa_system_sgpr_workgroup_id_z 0
		.amdhsa_system_sgpr_workgroup_info 0
		.amdhsa_system_vgpr_workitem_id 0
		.amdhsa_next_free_vgpr 5
		.amdhsa_next_free_sgpr 6
		.amdhsa_reserve_vcc 1
		.amdhsa_reserve_flat_scratch 0
		.amdhsa_float_round_mode_32 0
		.amdhsa_float_round_mode_16_64 0
		.amdhsa_float_denorm_mode_32 3
		.amdhsa_float_denorm_mode_16_64 3
		.amdhsa_dx10_clamp 1
		.amdhsa_ieee_mode 1
		.amdhsa_fp16_overflow 0
		.amdhsa_exception_fp_ieee_invalid_op 0
		.amdhsa_exception_fp_denorm_src 0
		.amdhsa_exception_fp_ieee_div_zero 0
		.amdhsa_exception_fp_ieee_overflow 0
		.amdhsa_exception_fp_ieee_underflow 0
		.amdhsa_exception_fp_ieee_inexact 0
		.amdhsa_exception_int_div_zero 0
	.end_amdhsa_kernel
	.section	.text._Z17testOperationsGPUI15HIP_vector_typeImLj1EES1_EvPT_S3_i,"axG",@progbits,_Z17testOperationsGPUI15HIP_vector_typeImLj1EES1_EvPT_S3_i,comdat
.Lfunc_end36:
	.size	_Z17testOperationsGPUI15HIP_vector_typeImLj1EES1_EvPT_S3_i, .Lfunc_end36-_Z17testOperationsGPUI15HIP_vector_typeImLj1EES1_EvPT_S3_i
                                        ; -- End function
	.set _Z17testOperationsGPUI15HIP_vector_typeImLj1EES1_EvPT_S3_i.num_vgpr, 5
	.set _Z17testOperationsGPUI15HIP_vector_typeImLj1EES1_EvPT_S3_i.num_agpr, 0
	.set _Z17testOperationsGPUI15HIP_vector_typeImLj1EES1_EvPT_S3_i.numbered_sgpr, 6
	.set _Z17testOperationsGPUI15HIP_vector_typeImLj1EES1_EvPT_S3_i.num_named_barrier, 0
	.set _Z17testOperationsGPUI15HIP_vector_typeImLj1EES1_EvPT_S3_i.private_seg_size, 0
	.set _Z17testOperationsGPUI15HIP_vector_typeImLj1EES1_EvPT_S3_i.uses_vcc, 1
	.set _Z17testOperationsGPUI15HIP_vector_typeImLj1EES1_EvPT_S3_i.uses_flat_scratch, 0
	.set _Z17testOperationsGPUI15HIP_vector_typeImLj1EES1_EvPT_S3_i.has_dyn_sized_stack, 0
	.set _Z17testOperationsGPUI15HIP_vector_typeImLj1EES1_EvPT_S3_i.has_recursion, 0
	.set _Z17testOperationsGPUI15HIP_vector_typeImLj1EES1_EvPT_S3_i.has_indirect_call, 0
	.section	.AMDGPU.csdata,"",@progbits
; Kernel info:
; codeLenInByte = 116
; TotalNumSgprs: 10
; NumVgprs: 5
; ScratchSize: 0
; MemoryBound: 0
; FloatMode: 240
; IeeeMode: 1
; LDSByteSize: 0 bytes/workgroup (compile time only)
; SGPRBlocks: 1
; VGPRBlocks: 1
; NumSGPRsForWavesPerEU: 10
; NumVGPRsForWavesPerEU: 5
; Occupancy: 10
; WaveLimiterHint : 0
; COMPUTE_PGM_RSRC2:SCRATCH_EN: 0
; COMPUTE_PGM_RSRC2:USER_SGPR: 6
; COMPUTE_PGM_RSRC2:TRAP_HANDLER: 0
; COMPUTE_PGM_RSRC2:TGID_X_EN: 1
; COMPUTE_PGM_RSRC2:TGID_Y_EN: 0
; COMPUTE_PGM_RSRC2:TGID_Z_EN: 0
; COMPUTE_PGM_RSRC2:TIDIG_COMP_CNT: 0
	.section	.text._Z17testOperationsGPUI15HIP_vector_typeImLj2EES0_ImLj1EEEvPT_S4_i,"axG",@progbits,_Z17testOperationsGPUI15HIP_vector_typeImLj2EES0_ImLj1EEEvPT_S4_i,comdat
	.protected	_Z17testOperationsGPUI15HIP_vector_typeImLj2EES0_ImLj1EEEvPT_S4_i ; -- Begin function _Z17testOperationsGPUI15HIP_vector_typeImLj2EES0_ImLj1EEEvPT_S4_i
	.globl	_Z17testOperationsGPUI15HIP_vector_typeImLj2EES0_ImLj1EEEvPT_S4_i
	.p2align	8
	.type	_Z17testOperationsGPUI15HIP_vector_typeImLj2EES0_ImLj1EEEvPT_S4_i,@function
_Z17testOperationsGPUI15HIP_vector_typeImLj2EES0_ImLj1EEEvPT_S4_i: ; @_Z17testOperationsGPUI15HIP_vector_typeImLj2EES0_ImLj1EEEvPT_S4_i
; %bb.0:
	s_load_dword s0, s[4:5], 0x10
	s_waitcnt lgkmcnt(0)
	v_cmp_ge_i32_e32 vcc, s0, v0
	s_and_saveexec_b64 s[0:1], vcc
	s_cbranch_execz .LBB37_2
; %bb.1:
	s_load_dwordx4 s[0:3], s[4:5], 0x0
	v_lshlrev_b32_e32 v4, 4, v0
	s_waitcnt lgkmcnt(0)
	global_load_dwordx2 v[0:1], v4, s[2:3]
	global_load_dwordx2 v[2:3], v4, s[0:1]
	s_waitcnt vmcnt(0)
	v_add_co_u32_e32 v0, vcc, v0, v2
	v_addc_co_u32_e32 v1, vcc, v1, v3, vcc
	v_add_co_u32_e32 v0, vcc, 1, v0
	v_addc_co_u32_e32 v1, vcc, 0, v1, vcc
	global_store_dwordx2 v4, v[0:1], s[0:1]
	global_load_dwordx2 v[0:1], v4, s[2:3]
	s_waitcnt vmcnt(0)
	v_add_co_u32_e32 v0, vcc, 1, v0
	v_addc_co_u32_e32 v1, vcc, 0, v1, vcc
	global_store_dwordx2 v4, v[0:1], s[0:1] offset:8
	global_load_dwordx2 v[2:3], v4, s[2:3] offset:8
	s_nop 0
	global_store_dwordx2 v4, v[0:1], s[2:3]
	s_waitcnt vmcnt(1)
	global_store_dwordx2 v4, v[2:3], s[0:1]
.LBB37_2:
	s_endpgm
	.section	.rodata,"a",@progbits
	.p2align	6, 0x0
	.amdhsa_kernel _Z17testOperationsGPUI15HIP_vector_typeImLj2EES0_ImLj1EEEvPT_S4_i
		.amdhsa_group_segment_fixed_size 0
		.amdhsa_private_segment_fixed_size 0
		.amdhsa_kernarg_size 20
		.amdhsa_user_sgpr_count 6
		.amdhsa_user_sgpr_private_segment_buffer 1
		.amdhsa_user_sgpr_dispatch_ptr 0
		.amdhsa_user_sgpr_queue_ptr 0
		.amdhsa_user_sgpr_kernarg_segment_ptr 1
		.amdhsa_user_sgpr_dispatch_id 0
		.amdhsa_user_sgpr_flat_scratch_init 0
		.amdhsa_user_sgpr_private_segment_size 0
		.amdhsa_uses_dynamic_stack 0
		.amdhsa_system_sgpr_private_segment_wavefront_offset 0
		.amdhsa_system_sgpr_workgroup_id_x 1
		.amdhsa_system_sgpr_workgroup_id_y 0
		.amdhsa_system_sgpr_workgroup_id_z 0
		.amdhsa_system_sgpr_workgroup_info 0
		.amdhsa_system_vgpr_workitem_id 0
		.amdhsa_next_free_vgpr 5
		.amdhsa_next_free_sgpr 6
		.amdhsa_reserve_vcc 1
		.amdhsa_reserve_flat_scratch 0
		.amdhsa_float_round_mode_32 0
		.amdhsa_float_round_mode_16_64 0
		.amdhsa_float_denorm_mode_32 3
		.amdhsa_float_denorm_mode_16_64 3
		.amdhsa_dx10_clamp 1
		.amdhsa_ieee_mode 1
		.amdhsa_fp16_overflow 0
		.amdhsa_exception_fp_ieee_invalid_op 0
		.amdhsa_exception_fp_denorm_src 0
		.amdhsa_exception_fp_ieee_div_zero 0
		.amdhsa_exception_fp_ieee_overflow 0
		.amdhsa_exception_fp_ieee_underflow 0
		.amdhsa_exception_fp_ieee_inexact 0
		.amdhsa_exception_int_div_zero 0
	.end_amdhsa_kernel
	.section	.text._Z17testOperationsGPUI15HIP_vector_typeImLj2EES0_ImLj1EEEvPT_S4_i,"axG",@progbits,_Z17testOperationsGPUI15HIP_vector_typeImLj2EES0_ImLj1EEEvPT_S4_i,comdat
.Lfunc_end37:
	.size	_Z17testOperationsGPUI15HIP_vector_typeImLj2EES0_ImLj1EEEvPT_S4_i, .Lfunc_end37-_Z17testOperationsGPUI15HIP_vector_typeImLj2EES0_ImLj1EEEvPT_S4_i
                                        ; -- End function
	.set _Z17testOperationsGPUI15HIP_vector_typeImLj2EES0_ImLj1EEEvPT_S4_i.num_vgpr, 5
	.set _Z17testOperationsGPUI15HIP_vector_typeImLj2EES0_ImLj1EEEvPT_S4_i.num_agpr, 0
	.set _Z17testOperationsGPUI15HIP_vector_typeImLj2EES0_ImLj1EEEvPT_S4_i.numbered_sgpr, 6
	.set _Z17testOperationsGPUI15HIP_vector_typeImLj2EES0_ImLj1EEEvPT_S4_i.num_named_barrier, 0
	.set _Z17testOperationsGPUI15HIP_vector_typeImLj2EES0_ImLj1EEEvPT_S4_i.private_seg_size, 0
	.set _Z17testOperationsGPUI15HIP_vector_typeImLj2EES0_ImLj1EEEvPT_S4_i.uses_vcc, 1
	.set _Z17testOperationsGPUI15HIP_vector_typeImLj2EES0_ImLj1EEEvPT_S4_i.uses_flat_scratch, 0
	.set _Z17testOperationsGPUI15HIP_vector_typeImLj2EES0_ImLj1EEEvPT_S4_i.has_dyn_sized_stack, 0
	.set _Z17testOperationsGPUI15HIP_vector_typeImLj2EES0_ImLj1EEEvPT_S4_i.has_recursion, 0
	.set _Z17testOperationsGPUI15HIP_vector_typeImLj2EES0_ImLj1EEEvPT_S4_i.has_indirect_call, 0
	.section	.AMDGPU.csdata,"",@progbits
; Kernel info:
; codeLenInByte = 148
; TotalNumSgprs: 10
; NumVgprs: 5
; ScratchSize: 0
; MemoryBound: 1
; FloatMode: 240
; IeeeMode: 1
; LDSByteSize: 0 bytes/workgroup (compile time only)
; SGPRBlocks: 1
; VGPRBlocks: 1
; NumSGPRsForWavesPerEU: 10
; NumVGPRsForWavesPerEU: 5
; Occupancy: 10
; WaveLimiterHint : 1
; COMPUTE_PGM_RSRC2:SCRATCH_EN: 0
; COMPUTE_PGM_RSRC2:USER_SGPR: 6
; COMPUTE_PGM_RSRC2:TRAP_HANDLER: 0
; COMPUTE_PGM_RSRC2:TGID_X_EN: 1
; COMPUTE_PGM_RSRC2:TGID_Y_EN: 0
; COMPUTE_PGM_RSRC2:TGID_Z_EN: 0
; COMPUTE_PGM_RSRC2:TIDIG_COMP_CNT: 0
	.section	.text._Z17testOperationsGPUI15HIP_vector_typeImLj3EES0_ImLj1EEEvPT_S4_i,"axG",@progbits,_Z17testOperationsGPUI15HIP_vector_typeImLj3EES0_ImLj1EEEvPT_S4_i,comdat
	.protected	_Z17testOperationsGPUI15HIP_vector_typeImLj3EES0_ImLj1EEEvPT_S4_i ; -- Begin function _Z17testOperationsGPUI15HIP_vector_typeImLj3EES0_ImLj1EEEvPT_S4_i
	.globl	_Z17testOperationsGPUI15HIP_vector_typeImLj3EES0_ImLj1EEEvPT_S4_i
	.p2align	8
	.type	_Z17testOperationsGPUI15HIP_vector_typeImLj3EES0_ImLj1EEEvPT_S4_i,@function
_Z17testOperationsGPUI15HIP_vector_typeImLj3EES0_ImLj1EEEvPT_S4_i: ; @_Z17testOperationsGPUI15HIP_vector_typeImLj3EES0_ImLj1EEEvPT_S4_i
; %bb.0:
	s_load_dword s0, s[4:5], 0x10
	s_waitcnt lgkmcnt(0)
	v_cmp_ge_i32_e32 vcc, s0, v0
	s_and_saveexec_b64 s[0:1], vcc
	s_cbranch_execz .LBB38_8
; %bb.1:
	s_load_dwordx4 s[0:3], s[4:5], 0x0
	s_waitcnt lgkmcnt(0)
	v_mov_b32_e32 v3, s2
	v_mov_b32_e32 v4, s3
	;; [unrolled: 1-line block ×4, first 2 shown]
	v_mad_u64_u32 v[6:7], s[0:1], v0, 24, v[3:4]
	v_mad_u64_u32 v[4:5], s[0:1], v0, 24, v[1:2]
	global_load_dwordx2 v[0:1], v[6:7], off
	global_load_dwordx2 v[2:3], v[4:5], off
	s_waitcnt vmcnt(0)
	v_add_co_u32_e32 v0, vcc, v0, v2
	v_addc_co_u32_e32 v1, vcc, v1, v3, vcc
	v_add_co_u32_e32 v0, vcc, 1, v0
	v_addc_co_u32_e32 v1, vcc, 0, v1, vcc
	global_store_dwordx2 v[4:5], v[0:1], off
	global_load_dwordx2 v[2:3], v[6:7], off
	s_waitcnt vmcnt(0)
	v_add_co_u32_e32 v8, vcc, 1, v2
	v_addc_co_u32_e32 v9, vcc, 0, v3, vcc
	global_store_dwordx2 v[4:5], v[8:9], off offset:8
	global_load_dwordx2 v[0:1], v[6:7], off offset:8
	s_waitcnt vmcnt(0)
	v_cmp_ne_u64_e32 vcc, 0, v[0:1]
	global_store_dwordx2 v[6:7], v[8:9], off
	v_mov_b32_e32 v8, 0
	v_mov_b32_e32 v9, 0
	global_store_dwordx2 v[4:5], v[0:1], off
	s_and_saveexec_b64 s[2:3], vcc
	s_cbranch_execz .LBB38_7
; %bb.2:
	global_load_dwordx2 v[8:9], v[6:7], off
	v_mov_b32_e32 v10, 0
	s_waitcnt vmcnt(0)
	v_or_b32_e32 v11, v9, v1
	v_cmp_ne_u64_e32 vcc, 0, v[10:11]
                                        ; implicit-def: $vgpr10_vgpr11
	s_and_saveexec_b64 s[0:1], vcc
	s_xor_b64 s[4:5], exec, s[0:1]
	s_cbranch_execz .LBB38_4
; %bb.3:
	v_cvt_f32_u32_e32 v10, v0
	v_cvt_f32_u32_e32 v11, v1
	v_sub_co_u32_e32 v16, vcc, 0, v0
	v_subb_co_u32_e32 v17, vcc, 0, v1, vcc
	v_madmk_f32 v10, v11, 0x4f800000, v10
	v_rcp_f32_e32 v10, v10
	v_mul_f32_e32 v10, 0x5f7ffffc, v10
	v_mul_f32_e32 v11, 0x2f800000, v10
	v_trunc_f32_e32 v11, v11
	v_madmk_f32 v10, v11, 0xcf800000, v10
	v_cvt_u32_f32_e32 v14, v11
	v_cvt_u32_f32_e32 v15, v10
	v_mul_lo_u32 v12, v16, v14
	v_mul_lo_u32 v13, v17, v15
	v_mad_u64_u32 v[10:11], s[0:1], v16, v15, 0
	v_add3_u32 v13, v11, v12, v13
	v_mul_hi_u32 v18, v15, v10
	v_mad_u64_u32 v[11:12], s[0:1], v15, v13, 0
	v_add_co_u32_e32 v18, vcc, v18, v11
	v_mad_u64_u32 v[10:11], s[0:1], v14, v10, 0
	v_addc_co_u32_e32 v19, vcc, 0, v12, vcc
	v_mad_u64_u32 v[12:13], s[0:1], v14, v13, 0
	v_add_co_u32_e32 v10, vcc, v18, v10
	v_addc_co_u32_e32 v10, vcc, v19, v11, vcc
	v_addc_co_u32_e32 v11, vcc, 0, v13, vcc
	v_add_co_u32_e32 v10, vcc, v10, v12
	v_addc_co_u32_e32 v11, vcc, 0, v11, vcc
	v_add_co_u32_e32 v18, vcc, v15, v10
	v_addc_co_u32_e32 v19, vcc, v14, v11, vcc
	v_mul_lo_u32 v12, v16, v19
	v_mul_lo_u32 v13, v17, v18
	v_mad_u64_u32 v[10:11], s[0:1], v16, v18, 0
	v_add3_u32 v13, v11, v12, v13
	v_mad_u64_u32 v[11:12], s[0:1], v19, v13, 0
	v_mad_u64_u32 v[13:14], s[0:1], v18, v13, 0
	v_mul_hi_u32 v17, v18, v10
	v_mad_u64_u32 v[15:16], s[0:1], v19, v10, 0
	v_add_co_u32_e32 v10, vcc, v17, v13
	v_addc_co_u32_e32 v13, vcc, 0, v14, vcc
	v_add_co_u32_e32 v10, vcc, v10, v15
	v_addc_co_u32_e32 v10, vcc, v13, v16, vcc
	v_addc_co_u32_e32 v12, vcc, 0, v12, vcc
	v_add_co_u32_e32 v10, vcc, v10, v11
	v_addc_co_u32_e32 v11, vcc, 0, v12, vcc
	v_add_co_u32_e32 v12, vcc, v18, v10
	v_addc_co_u32_e32 v13, vcc, v19, v11, vcc
	v_mad_u64_u32 v[10:11], s[0:1], v8, v13, 0
	v_mul_hi_u32 v14, v8, v12
	v_add_co_u32_e32 v14, vcc, v14, v10
	v_addc_co_u32_e32 v15, vcc, 0, v11, vcc
	v_mad_u64_u32 v[10:11], s[0:1], v9, v12, 0
	v_mad_u64_u32 v[12:13], s[0:1], v9, v13, 0
	v_add_co_u32_e32 v10, vcc, v14, v10
	v_addc_co_u32_e32 v10, vcc, v15, v11, vcc
	v_addc_co_u32_e32 v11, vcc, 0, v13, vcc
	v_add_co_u32_e32 v12, vcc, v10, v12
	v_addc_co_u32_e32 v13, vcc, 0, v11, vcc
	v_mul_lo_u32 v14, v1, v12
	v_mul_lo_u32 v15, v0, v13
	v_mad_u64_u32 v[10:11], s[0:1], v0, v12, 0
	v_add3_u32 v11, v11, v15, v14
	v_sub_u32_e32 v14, v9, v11
	v_sub_co_u32_e32 v8, vcc, v8, v10
	v_subb_co_u32_e64 v10, s[0:1], v14, v1, vcc
	v_sub_co_u32_e64 v14, s[0:1], v8, v0
	v_subbrev_co_u32_e64 v10, s[0:1], 0, v10, s[0:1]
	v_cmp_ge_u32_e64 s[0:1], v10, v1
	v_cndmask_b32_e64 v15, 0, -1, s[0:1]
	v_cmp_ge_u32_e64 s[0:1], v14, v0
	v_cndmask_b32_e64 v14, 0, -1, s[0:1]
	v_cmp_eq_u32_e64 s[0:1], v10, v1
	v_cndmask_b32_e64 v10, v15, v14, s[0:1]
	v_add_co_u32_e64 v14, s[0:1], 2, v12
	v_subb_co_u32_e32 v9, vcc, v9, v11, vcc
	v_addc_co_u32_e64 v15, s[0:1], 0, v13, s[0:1]
	v_cmp_ge_u32_e32 vcc, v9, v1
	v_add_co_u32_e64 v16, s[0:1], 1, v12
	v_cndmask_b32_e64 v11, 0, -1, vcc
	v_cmp_ge_u32_e32 vcc, v8, v0
	v_addc_co_u32_e64 v17, s[0:1], 0, v13, s[0:1]
	v_cndmask_b32_e64 v0, 0, -1, vcc
	v_cmp_eq_u32_e32 vcc, v9, v1
	v_cmp_ne_u32_e64 s[0:1], 0, v10
	v_cndmask_b32_e32 v0, v11, v0, vcc
	v_cndmask_b32_e64 v10, v17, v15, s[0:1]
	v_cmp_ne_u32_e32 vcc, 0, v0
	v_cndmask_b32_e64 v0, v16, v14, s[0:1]
	v_cndmask_b32_e32 v11, v13, v10, vcc
	v_cndmask_b32_e32 v10, v12, v0, vcc
                                        ; implicit-def: $vgpr0_vgpr1
                                        ; implicit-def: $vgpr8_vgpr9
.LBB38_4:
	s_andn2_saveexec_b64 s[0:1], s[4:5]
	s_cbranch_execz .LBB38_6
; %bb.5:
	v_cvt_f32_u32_e32 v1, v0
	v_sub_u32_e32 v9, 0, v0
	v_mov_b32_e32 v11, 0
	v_rcp_iflag_f32_e32 v1, v1
	v_mul_f32_e32 v1, 0x4f7ffffe, v1
	v_cvt_u32_f32_e32 v1, v1
	v_mul_lo_u32 v9, v9, v1
	v_mul_hi_u32 v9, v1, v9
	v_add_u32_e32 v1, v1, v9
	v_mul_hi_u32 v1, v8, v1
	v_mul_lo_u32 v9, v1, v0
	v_add_u32_e32 v10, 1, v1
	v_sub_u32_e32 v8, v8, v9
	v_sub_u32_e32 v9, v8, v0
	v_cmp_ge_u32_e32 vcc, v8, v0
	v_cndmask_b32_e32 v8, v8, v9, vcc
	v_cndmask_b32_e32 v1, v1, v10, vcc
	v_add_u32_e32 v9, 1, v1
	v_cmp_ge_u32_e32 vcc, v8, v0
	v_cndmask_b32_e32 v10, v1, v9, vcc
.LBB38_6:
	s_or_b64 exec, exec, s[0:1]
	global_store_dwordx2 v[6:7], v[10:11], off
	global_load_dwordx2 v[8:9], v[4:5], off
.LBB38_7:
	s_or_b64 exec, exec, s[2:3]
	global_load_dwordx2 v[0:1], v[6:7], off offset:16
	s_waitcnt vmcnt(0)
	v_mul_lo_u32 v6, v1, v8
	v_mul_lo_u32 v7, v0, v9
	v_mad_u64_u32 v[0:1], s[0:1], v0, v8, 0
	v_add3_u32 v1, v1, v7, v6
	global_store_dwordx4 v[4:5], v[0:3], off
.LBB38_8:
	s_endpgm
	.section	.rodata,"a",@progbits
	.p2align	6, 0x0
	.amdhsa_kernel _Z17testOperationsGPUI15HIP_vector_typeImLj3EES0_ImLj1EEEvPT_S4_i
		.amdhsa_group_segment_fixed_size 0
		.amdhsa_private_segment_fixed_size 0
		.amdhsa_kernarg_size 20
		.amdhsa_user_sgpr_count 6
		.amdhsa_user_sgpr_private_segment_buffer 1
		.amdhsa_user_sgpr_dispatch_ptr 0
		.amdhsa_user_sgpr_queue_ptr 0
		.amdhsa_user_sgpr_kernarg_segment_ptr 1
		.amdhsa_user_sgpr_dispatch_id 0
		.amdhsa_user_sgpr_flat_scratch_init 0
		.amdhsa_user_sgpr_private_segment_size 0
		.amdhsa_uses_dynamic_stack 0
		.amdhsa_system_sgpr_private_segment_wavefront_offset 0
		.amdhsa_system_sgpr_workgroup_id_x 1
		.amdhsa_system_sgpr_workgroup_id_y 0
		.amdhsa_system_sgpr_workgroup_id_z 0
		.amdhsa_system_sgpr_workgroup_info 0
		.amdhsa_system_vgpr_workitem_id 0
		.amdhsa_next_free_vgpr 20
		.amdhsa_next_free_sgpr 6
		.amdhsa_reserve_vcc 1
		.amdhsa_reserve_flat_scratch 0
		.amdhsa_float_round_mode_32 0
		.amdhsa_float_round_mode_16_64 0
		.amdhsa_float_denorm_mode_32 3
		.amdhsa_float_denorm_mode_16_64 3
		.amdhsa_dx10_clamp 1
		.amdhsa_ieee_mode 1
		.amdhsa_fp16_overflow 0
		.amdhsa_exception_fp_ieee_invalid_op 0
		.amdhsa_exception_fp_denorm_src 0
		.amdhsa_exception_fp_ieee_div_zero 0
		.amdhsa_exception_fp_ieee_overflow 0
		.amdhsa_exception_fp_ieee_underflow 0
		.amdhsa_exception_fp_ieee_inexact 0
		.amdhsa_exception_int_div_zero 0
	.end_amdhsa_kernel
	.section	.text._Z17testOperationsGPUI15HIP_vector_typeImLj3EES0_ImLj1EEEvPT_S4_i,"axG",@progbits,_Z17testOperationsGPUI15HIP_vector_typeImLj3EES0_ImLj1EEEvPT_S4_i,comdat
.Lfunc_end38:
	.size	_Z17testOperationsGPUI15HIP_vector_typeImLj3EES0_ImLj1EEEvPT_S4_i, .Lfunc_end38-_Z17testOperationsGPUI15HIP_vector_typeImLj3EES0_ImLj1EEEvPT_S4_i
                                        ; -- End function
	.set _Z17testOperationsGPUI15HIP_vector_typeImLj3EES0_ImLj1EEEvPT_S4_i.num_vgpr, 20
	.set _Z17testOperationsGPUI15HIP_vector_typeImLj3EES0_ImLj1EEEvPT_S4_i.num_agpr, 0
	.set _Z17testOperationsGPUI15HIP_vector_typeImLj3EES0_ImLj1EEEvPT_S4_i.numbered_sgpr, 6
	.set _Z17testOperationsGPUI15HIP_vector_typeImLj3EES0_ImLj1EEEvPT_S4_i.num_named_barrier, 0
	.set _Z17testOperationsGPUI15HIP_vector_typeImLj3EES0_ImLj1EEEvPT_S4_i.private_seg_size, 0
	.set _Z17testOperationsGPUI15HIP_vector_typeImLj3EES0_ImLj1EEEvPT_S4_i.uses_vcc, 1
	.set _Z17testOperationsGPUI15HIP_vector_typeImLj3EES0_ImLj1EEEvPT_S4_i.uses_flat_scratch, 0
	.set _Z17testOperationsGPUI15HIP_vector_typeImLj3EES0_ImLj1EEEvPT_S4_i.has_dyn_sized_stack, 0
	.set _Z17testOperationsGPUI15HIP_vector_typeImLj3EES0_ImLj1EEEvPT_S4_i.has_recursion, 0
	.set _Z17testOperationsGPUI15HIP_vector_typeImLj3EES0_ImLj1EEEvPT_S4_i.has_indirect_call, 0
	.section	.AMDGPU.csdata,"",@progbits
; Kernel info:
; codeLenInByte = 960
; TotalNumSgprs: 10
; NumVgprs: 20
; ScratchSize: 0
; MemoryBound: 0
; FloatMode: 240
; IeeeMode: 1
; LDSByteSize: 0 bytes/workgroup (compile time only)
; SGPRBlocks: 1
; VGPRBlocks: 4
; NumSGPRsForWavesPerEU: 10
; NumVGPRsForWavesPerEU: 20
; Occupancy: 10
; WaveLimiterHint : 0
; COMPUTE_PGM_RSRC2:SCRATCH_EN: 0
; COMPUTE_PGM_RSRC2:USER_SGPR: 6
; COMPUTE_PGM_RSRC2:TRAP_HANDLER: 0
; COMPUTE_PGM_RSRC2:TGID_X_EN: 1
; COMPUTE_PGM_RSRC2:TGID_Y_EN: 0
; COMPUTE_PGM_RSRC2:TGID_Z_EN: 0
; COMPUTE_PGM_RSRC2:TIDIG_COMP_CNT: 0
	.section	.text._Z17testOperationsGPUI15HIP_vector_typeImLj4EES0_ImLj1EEEvPT_S4_i,"axG",@progbits,_Z17testOperationsGPUI15HIP_vector_typeImLj4EES0_ImLj1EEEvPT_S4_i,comdat
	.protected	_Z17testOperationsGPUI15HIP_vector_typeImLj4EES0_ImLj1EEEvPT_S4_i ; -- Begin function _Z17testOperationsGPUI15HIP_vector_typeImLj4EES0_ImLj1EEEvPT_S4_i
	.globl	_Z17testOperationsGPUI15HIP_vector_typeImLj4EES0_ImLj1EEEvPT_S4_i
	.p2align	8
	.type	_Z17testOperationsGPUI15HIP_vector_typeImLj4EES0_ImLj1EEEvPT_S4_i,@function
_Z17testOperationsGPUI15HIP_vector_typeImLj4EES0_ImLj1EEEvPT_S4_i: ; @_Z17testOperationsGPUI15HIP_vector_typeImLj4EES0_ImLj1EEEvPT_S4_i
; %bb.0:
	s_load_dword s0, s[4:5], 0x10
	s_waitcnt lgkmcnt(0)
	v_cmp_ge_i32_e32 vcc, s0, v0
	s_and_saveexec_b64 s[0:1], vcc
	s_cbranch_execz .LBB39_8
; %bb.1:
	s_load_dwordx4 s[0:3], s[4:5], 0x0
	v_lshlrev_b32_e32 v11, 5, v0
	v_mov_b32_e32 v10, 0
	s_waitcnt lgkmcnt(0)
	global_load_dwordx2 v[0:1], v11, s[2:3]
	global_load_dwordx2 v[2:3], v11, s[0:1]
	v_mov_b32_e32 v5, s1
	v_mov_b32_e32 v7, s3
	s_waitcnt vmcnt(0)
	v_add_co_u32_e32 v0, vcc, v0, v2
	v_addc_co_u32_e32 v1, vcc, v1, v3, vcc
	v_add_co_u32_e32 v0, vcc, 1, v0
	v_addc_co_u32_e32 v1, vcc, 0, v1, vcc
	global_store_dwordx2 v11, v[0:1], s[0:1]
	global_load_dwordx2 v[2:3], v11, s[2:3]
	s_waitcnt vmcnt(0)
	v_add_co_u32_e32 v8, vcc, 1, v2
	v_addc_co_u32_e32 v9, vcc, 0, v3, vcc
	global_store_dwordx2 v11, v[8:9], s[0:1] offset:8
	global_load_dwordx2 v[0:1], v11, s[2:3] offset:8
	v_add_co_u32_e32 v4, vcc, s0, v11
	v_addc_co_u32_e32 v5, vcc, 0, v5, vcc
	v_add_co_u32_e32 v6, vcc, s2, v11
	v_addc_co_u32_e32 v7, vcc, 0, v7, vcc
	global_store_dwordx2 v11, v[8:9], s[2:3]
	v_mov_b32_e32 v8, 0
	v_mov_b32_e32 v9, 0
	s_waitcnt vmcnt(1)
	v_cmp_ne_u64_e32 vcc, 0, v[0:1]
	global_store_dwordx2 v11, v[0:1], s[0:1]
	s_and_saveexec_b64 s[2:3], vcc
	s_cbranch_execz .LBB39_7
; %bb.2:
	global_load_dwordx2 v[8:9], v[6:7], off
	s_waitcnt vmcnt(0)
	v_or_b32_e32 v11, v9, v1
	v_cmp_ne_u64_e32 vcc, 0, v[10:11]
                                        ; implicit-def: $vgpr10_vgpr11
	s_and_saveexec_b64 s[0:1], vcc
	s_xor_b64 s[4:5], exec, s[0:1]
	s_cbranch_execz .LBB39_4
; %bb.3:
	v_cvt_f32_u32_e32 v10, v0
	v_cvt_f32_u32_e32 v11, v1
	v_sub_co_u32_e32 v16, vcc, 0, v0
	v_subb_co_u32_e32 v17, vcc, 0, v1, vcc
	v_madmk_f32 v10, v11, 0x4f800000, v10
	v_rcp_f32_e32 v10, v10
	v_mul_f32_e32 v10, 0x5f7ffffc, v10
	v_mul_f32_e32 v11, 0x2f800000, v10
	v_trunc_f32_e32 v11, v11
	v_madmk_f32 v10, v11, 0xcf800000, v10
	v_cvt_u32_f32_e32 v14, v11
	v_cvt_u32_f32_e32 v15, v10
	v_mul_lo_u32 v12, v16, v14
	v_mul_lo_u32 v13, v17, v15
	v_mad_u64_u32 v[10:11], s[0:1], v16, v15, 0
	v_add3_u32 v13, v11, v12, v13
	v_mul_hi_u32 v18, v15, v10
	v_mad_u64_u32 v[11:12], s[0:1], v15, v13, 0
	v_add_co_u32_e32 v18, vcc, v18, v11
	v_mad_u64_u32 v[10:11], s[0:1], v14, v10, 0
	v_addc_co_u32_e32 v19, vcc, 0, v12, vcc
	v_mad_u64_u32 v[12:13], s[0:1], v14, v13, 0
	v_add_co_u32_e32 v10, vcc, v18, v10
	v_addc_co_u32_e32 v10, vcc, v19, v11, vcc
	v_addc_co_u32_e32 v11, vcc, 0, v13, vcc
	v_add_co_u32_e32 v10, vcc, v10, v12
	v_addc_co_u32_e32 v11, vcc, 0, v11, vcc
	v_add_co_u32_e32 v18, vcc, v15, v10
	v_addc_co_u32_e32 v19, vcc, v14, v11, vcc
	v_mul_lo_u32 v12, v16, v19
	v_mul_lo_u32 v13, v17, v18
	v_mad_u64_u32 v[10:11], s[0:1], v16, v18, 0
	v_add3_u32 v13, v11, v12, v13
	v_mad_u64_u32 v[11:12], s[0:1], v19, v13, 0
	v_mad_u64_u32 v[13:14], s[0:1], v18, v13, 0
	v_mul_hi_u32 v17, v18, v10
	v_mad_u64_u32 v[15:16], s[0:1], v19, v10, 0
	v_add_co_u32_e32 v10, vcc, v17, v13
	v_addc_co_u32_e32 v13, vcc, 0, v14, vcc
	v_add_co_u32_e32 v10, vcc, v10, v15
	v_addc_co_u32_e32 v10, vcc, v13, v16, vcc
	v_addc_co_u32_e32 v12, vcc, 0, v12, vcc
	v_add_co_u32_e32 v10, vcc, v10, v11
	v_addc_co_u32_e32 v11, vcc, 0, v12, vcc
	v_add_co_u32_e32 v12, vcc, v18, v10
	v_addc_co_u32_e32 v13, vcc, v19, v11, vcc
	v_mad_u64_u32 v[10:11], s[0:1], v8, v13, 0
	v_mul_hi_u32 v14, v8, v12
	v_add_co_u32_e32 v14, vcc, v14, v10
	v_addc_co_u32_e32 v15, vcc, 0, v11, vcc
	v_mad_u64_u32 v[10:11], s[0:1], v9, v12, 0
	v_mad_u64_u32 v[12:13], s[0:1], v9, v13, 0
	v_add_co_u32_e32 v10, vcc, v14, v10
	v_addc_co_u32_e32 v10, vcc, v15, v11, vcc
	v_addc_co_u32_e32 v11, vcc, 0, v13, vcc
	v_add_co_u32_e32 v12, vcc, v10, v12
	v_addc_co_u32_e32 v13, vcc, 0, v11, vcc
	v_mul_lo_u32 v14, v1, v12
	v_mul_lo_u32 v15, v0, v13
	v_mad_u64_u32 v[10:11], s[0:1], v0, v12, 0
	v_add3_u32 v11, v11, v15, v14
	v_sub_u32_e32 v14, v9, v11
	v_sub_co_u32_e32 v8, vcc, v8, v10
	v_subb_co_u32_e64 v10, s[0:1], v14, v1, vcc
	v_sub_co_u32_e64 v14, s[0:1], v8, v0
	v_subbrev_co_u32_e64 v10, s[0:1], 0, v10, s[0:1]
	v_cmp_ge_u32_e64 s[0:1], v10, v1
	v_cndmask_b32_e64 v15, 0, -1, s[0:1]
	v_cmp_ge_u32_e64 s[0:1], v14, v0
	v_cndmask_b32_e64 v14, 0, -1, s[0:1]
	v_cmp_eq_u32_e64 s[0:1], v10, v1
	v_cndmask_b32_e64 v10, v15, v14, s[0:1]
	v_add_co_u32_e64 v14, s[0:1], 2, v12
	v_subb_co_u32_e32 v9, vcc, v9, v11, vcc
	v_addc_co_u32_e64 v15, s[0:1], 0, v13, s[0:1]
	v_cmp_ge_u32_e32 vcc, v9, v1
	v_add_co_u32_e64 v16, s[0:1], 1, v12
	v_cndmask_b32_e64 v11, 0, -1, vcc
	v_cmp_ge_u32_e32 vcc, v8, v0
	v_addc_co_u32_e64 v17, s[0:1], 0, v13, s[0:1]
	v_cndmask_b32_e64 v0, 0, -1, vcc
	v_cmp_eq_u32_e32 vcc, v9, v1
	v_cmp_ne_u32_e64 s[0:1], 0, v10
	v_cndmask_b32_e32 v0, v11, v0, vcc
	v_cndmask_b32_e64 v10, v17, v15, s[0:1]
	v_cmp_ne_u32_e32 vcc, 0, v0
	v_cndmask_b32_e64 v0, v16, v14, s[0:1]
	v_cndmask_b32_e32 v11, v13, v10, vcc
	v_cndmask_b32_e32 v10, v12, v0, vcc
                                        ; implicit-def: $vgpr0_vgpr1
                                        ; implicit-def: $vgpr8_vgpr9
.LBB39_4:
	s_andn2_saveexec_b64 s[0:1], s[4:5]
	s_cbranch_execz .LBB39_6
; %bb.5:
	v_cvt_f32_u32_e32 v1, v0
	v_sub_u32_e32 v9, 0, v0
	v_mov_b32_e32 v11, 0
	v_rcp_iflag_f32_e32 v1, v1
	v_mul_f32_e32 v1, 0x4f7ffffe, v1
	v_cvt_u32_f32_e32 v1, v1
	v_mul_lo_u32 v9, v9, v1
	v_mul_hi_u32 v9, v1, v9
	v_add_u32_e32 v1, v1, v9
	v_mul_hi_u32 v1, v8, v1
	v_mul_lo_u32 v9, v1, v0
	v_add_u32_e32 v10, 1, v1
	v_sub_u32_e32 v8, v8, v9
	v_sub_u32_e32 v9, v8, v0
	v_cmp_ge_u32_e32 vcc, v8, v0
	v_cndmask_b32_e32 v8, v8, v9, vcc
	v_cndmask_b32_e32 v1, v1, v10, vcc
	v_add_u32_e32 v9, 1, v1
	v_cmp_ge_u32_e32 vcc, v8, v0
	v_cndmask_b32_e32 v10, v1, v9, vcc
.LBB39_6:
	s_or_b64 exec, exec, s[0:1]
	global_store_dwordx2 v[6:7], v[10:11], off
	global_load_dwordx2 v[8:9], v[4:5], off
.LBB39_7:
	s_or_b64 exec, exec, s[2:3]
	global_load_dwordx2 v[0:1], v[6:7], off offset:16
	s_waitcnt vmcnt(0)
	v_mul_lo_u32 v10, v1, v8
	v_mul_lo_u32 v9, v0, v9
	v_mad_u64_u32 v[0:1], s[0:1], v0, v8, 0
	v_add3_u32 v1, v1, v9, v10
	global_store_dwordx4 v[4:5], v[0:3], off
	global_store_dwordx2 v[6:7], v[0:1], off offset:24
	global_load_dwordx2 v[0:1], v[6:7], off offset:8
	s_nop 0
	global_load_dwordx2 v[2:3], v[4:5], off offset:24
	s_waitcnt vmcnt(0)
	v_sub_co_u32_e32 v0, vcc, v2, v0
	v_subb_co_u32_e32 v1, vcc, v3, v1, vcc
	global_store_dwordx2 v[4:5], v[0:1], off offset:24
.LBB39_8:
	s_endpgm
	.section	.rodata,"a",@progbits
	.p2align	6, 0x0
	.amdhsa_kernel _Z17testOperationsGPUI15HIP_vector_typeImLj4EES0_ImLj1EEEvPT_S4_i
		.amdhsa_group_segment_fixed_size 0
		.amdhsa_private_segment_fixed_size 0
		.amdhsa_kernarg_size 20
		.amdhsa_user_sgpr_count 6
		.amdhsa_user_sgpr_private_segment_buffer 1
		.amdhsa_user_sgpr_dispatch_ptr 0
		.amdhsa_user_sgpr_queue_ptr 0
		.amdhsa_user_sgpr_kernarg_segment_ptr 1
		.amdhsa_user_sgpr_dispatch_id 0
		.amdhsa_user_sgpr_flat_scratch_init 0
		.amdhsa_user_sgpr_private_segment_size 0
		.amdhsa_uses_dynamic_stack 0
		.amdhsa_system_sgpr_private_segment_wavefront_offset 0
		.amdhsa_system_sgpr_workgroup_id_x 1
		.amdhsa_system_sgpr_workgroup_id_y 0
		.amdhsa_system_sgpr_workgroup_id_z 0
		.amdhsa_system_sgpr_workgroup_info 0
		.amdhsa_system_vgpr_workitem_id 0
		.amdhsa_next_free_vgpr 20
		.amdhsa_next_free_sgpr 6
		.amdhsa_reserve_vcc 1
		.amdhsa_reserve_flat_scratch 0
		.amdhsa_float_round_mode_32 0
		.amdhsa_float_round_mode_16_64 0
		.amdhsa_float_denorm_mode_32 3
		.amdhsa_float_denorm_mode_16_64 3
		.amdhsa_dx10_clamp 1
		.amdhsa_ieee_mode 1
		.amdhsa_fp16_overflow 0
		.amdhsa_exception_fp_ieee_invalid_op 0
		.amdhsa_exception_fp_denorm_src 0
		.amdhsa_exception_fp_ieee_div_zero 0
		.amdhsa_exception_fp_ieee_overflow 0
		.amdhsa_exception_fp_ieee_underflow 0
		.amdhsa_exception_fp_ieee_inexact 0
		.amdhsa_exception_int_div_zero 0
	.end_amdhsa_kernel
	.section	.text._Z17testOperationsGPUI15HIP_vector_typeImLj4EES0_ImLj1EEEvPT_S4_i,"axG",@progbits,_Z17testOperationsGPUI15HIP_vector_typeImLj4EES0_ImLj1EEEvPT_S4_i,comdat
.Lfunc_end39:
	.size	_Z17testOperationsGPUI15HIP_vector_typeImLj4EES0_ImLj1EEEvPT_S4_i, .Lfunc_end39-_Z17testOperationsGPUI15HIP_vector_typeImLj4EES0_ImLj1EEEvPT_S4_i
                                        ; -- End function
	.set _Z17testOperationsGPUI15HIP_vector_typeImLj4EES0_ImLj1EEEvPT_S4_i.num_vgpr, 20
	.set _Z17testOperationsGPUI15HIP_vector_typeImLj4EES0_ImLj1EEEvPT_S4_i.num_agpr, 0
	.set _Z17testOperationsGPUI15HIP_vector_typeImLj4EES0_ImLj1EEEvPT_S4_i.numbered_sgpr, 6
	.set _Z17testOperationsGPUI15HIP_vector_typeImLj4EES0_ImLj1EEEvPT_S4_i.num_named_barrier, 0
	.set _Z17testOperationsGPUI15HIP_vector_typeImLj4EES0_ImLj1EEEvPT_S4_i.private_seg_size, 0
	.set _Z17testOperationsGPUI15HIP_vector_typeImLj4EES0_ImLj1EEEvPT_S4_i.uses_vcc, 1
	.set _Z17testOperationsGPUI15HIP_vector_typeImLj4EES0_ImLj1EEEvPT_S4_i.uses_flat_scratch, 0
	.set _Z17testOperationsGPUI15HIP_vector_typeImLj4EES0_ImLj1EEEvPT_S4_i.has_dyn_sized_stack, 0
	.set _Z17testOperationsGPUI15HIP_vector_typeImLj4EES0_ImLj1EEEvPT_S4_i.has_recursion, 0
	.set _Z17testOperationsGPUI15HIP_vector_typeImLj4EES0_ImLj1EEEvPT_S4_i.has_indirect_call, 0
	.section	.AMDGPU.csdata,"",@progbits
; Kernel info:
; codeLenInByte = 1004
; TotalNumSgprs: 10
; NumVgprs: 20
; ScratchSize: 0
; MemoryBound: 0
; FloatMode: 240
; IeeeMode: 1
; LDSByteSize: 0 bytes/workgroup (compile time only)
; SGPRBlocks: 1
; VGPRBlocks: 4
; NumSGPRsForWavesPerEU: 10
; NumVGPRsForWavesPerEU: 20
; Occupancy: 10
; WaveLimiterHint : 0
; COMPUTE_PGM_RSRC2:SCRATCH_EN: 0
; COMPUTE_PGM_RSRC2:USER_SGPR: 6
; COMPUTE_PGM_RSRC2:TRAP_HANDLER: 0
; COMPUTE_PGM_RSRC2:TGID_X_EN: 1
; COMPUTE_PGM_RSRC2:TGID_Y_EN: 0
; COMPUTE_PGM_RSRC2:TGID_Z_EN: 0
; COMPUTE_PGM_RSRC2:TIDIG_COMP_CNT: 0
	.section	.text._Z17testOperationsGPUI15HIP_vector_typeIyLj1EES1_EvPT_S3_i,"axG",@progbits,_Z17testOperationsGPUI15HIP_vector_typeIyLj1EES1_EvPT_S3_i,comdat
	.protected	_Z17testOperationsGPUI15HIP_vector_typeIyLj1EES1_EvPT_S3_i ; -- Begin function _Z17testOperationsGPUI15HIP_vector_typeIyLj1EES1_EvPT_S3_i
	.globl	_Z17testOperationsGPUI15HIP_vector_typeIyLj1EES1_EvPT_S3_i
	.p2align	8
	.type	_Z17testOperationsGPUI15HIP_vector_typeIyLj1EES1_EvPT_S3_i,@function
_Z17testOperationsGPUI15HIP_vector_typeIyLj1EES1_EvPT_S3_i: ; @_Z17testOperationsGPUI15HIP_vector_typeIyLj1EES1_EvPT_S3_i
; %bb.0:
	s_load_dword s0, s[4:5], 0x10
	s_waitcnt lgkmcnt(0)
	v_cmp_ge_i32_e32 vcc, s0, v0
	s_and_saveexec_b64 s[0:1], vcc
	s_cbranch_execz .LBB40_2
; %bb.1:
	s_load_dwordx4 s[0:3], s[4:5], 0x0
	v_lshlrev_b32_e32 v4, 3, v0
	s_waitcnt lgkmcnt(0)
	global_load_dwordx2 v[0:1], v4, s[2:3]
	global_load_dwordx2 v[2:3], v4, s[0:1]
	s_waitcnt vmcnt(0)
	v_add_co_u32_e32 v0, vcc, v0, v2
	v_addc_co_u32_e32 v1, vcc, v1, v3, vcc
	v_add_co_u32_e32 v0, vcc, 1, v0
	v_addc_co_u32_e32 v1, vcc, 0, v1, vcc
	global_store_dwordx2 v4, v[0:1], s[0:1]
	global_load_dwordx2 v[0:1], v4, s[2:3]
	s_waitcnt vmcnt(0)
	v_add_co_u32_e32 v0, vcc, 1, v0
	v_addc_co_u32_e32 v1, vcc, 0, v1, vcc
	global_store_dwordx2 v4, v[0:1], s[2:3]
.LBB40_2:
	s_endpgm
	.section	.rodata,"a",@progbits
	.p2align	6, 0x0
	.amdhsa_kernel _Z17testOperationsGPUI15HIP_vector_typeIyLj1EES1_EvPT_S3_i
		.amdhsa_group_segment_fixed_size 0
		.amdhsa_private_segment_fixed_size 0
		.amdhsa_kernarg_size 20
		.amdhsa_user_sgpr_count 6
		.amdhsa_user_sgpr_private_segment_buffer 1
		.amdhsa_user_sgpr_dispatch_ptr 0
		.amdhsa_user_sgpr_queue_ptr 0
		.amdhsa_user_sgpr_kernarg_segment_ptr 1
		.amdhsa_user_sgpr_dispatch_id 0
		.amdhsa_user_sgpr_flat_scratch_init 0
		.amdhsa_user_sgpr_private_segment_size 0
		.amdhsa_uses_dynamic_stack 0
		.amdhsa_system_sgpr_private_segment_wavefront_offset 0
		.amdhsa_system_sgpr_workgroup_id_x 1
		.amdhsa_system_sgpr_workgroup_id_y 0
		.amdhsa_system_sgpr_workgroup_id_z 0
		.amdhsa_system_sgpr_workgroup_info 0
		.amdhsa_system_vgpr_workitem_id 0
		.amdhsa_next_free_vgpr 5
		.amdhsa_next_free_sgpr 6
		.amdhsa_reserve_vcc 1
		.amdhsa_reserve_flat_scratch 0
		.amdhsa_float_round_mode_32 0
		.amdhsa_float_round_mode_16_64 0
		.amdhsa_float_denorm_mode_32 3
		.amdhsa_float_denorm_mode_16_64 3
		.amdhsa_dx10_clamp 1
		.amdhsa_ieee_mode 1
		.amdhsa_fp16_overflow 0
		.amdhsa_exception_fp_ieee_invalid_op 0
		.amdhsa_exception_fp_denorm_src 0
		.amdhsa_exception_fp_ieee_div_zero 0
		.amdhsa_exception_fp_ieee_overflow 0
		.amdhsa_exception_fp_ieee_underflow 0
		.amdhsa_exception_fp_ieee_inexact 0
		.amdhsa_exception_int_div_zero 0
	.end_amdhsa_kernel
	.section	.text._Z17testOperationsGPUI15HIP_vector_typeIyLj1EES1_EvPT_S3_i,"axG",@progbits,_Z17testOperationsGPUI15HIP_vector_typeIyLj1EES1_EvPT_S3_i,comdat
.Lfunc_end40:
	.size	_Z17testOperationsGPUI15HIP_vector_typeIyLj1EES1_EvPT_S3_i, .Lfunc_end40-_Z17testOperationsGPUI15HIP_vector_typeIyLj1EES1_EvPT_S3_i
                                        ; -- End function
	.set _Z17testOperationsGPUI15HIP_vector_typeIyLj1EES1_EvPT_S3_i.num_vgpr, 5
	.set _Z17testOperationsGPUI15HIP_vector_typeIyLj1EES1_EvPT_S3_i.num_agpr, 0
	.set _Z17testOperationsGPUI15HIP_vector_typeIyLj1EES1_EvPT_S3_i.numbered_sgpr, 6
	.set _Z17testOperationsGPUI15HIP_vector_typeIyLj1EES1_EvPT_S3_i.num_named_barrier, 0
	.set _Z17testOperationsGPUI15HIP_vector_typeIyLj1EES1_EvPT_S3_i.private_seg_size, 0
	.set _Z17testOperationsGPUI15HIP_vector_typeIyLj1EES1_EvPT_S3_i.uses_vcc, 1
	.set _Z17testOperationsGPUI15HIP_vector_typeIyLj1EES1_EvPT_S3_i.uses_flat_scratch, 0
	.set _Z17testOperationsGPUI15HIP_vector_typeIyLj1EES1_EvPT_S3_i.has_dyn_sized_stack, 0
	.set _Z17testOperationsGPUI15HIP_vector_typeIyLj1EES1_EvPT_S3_i.has_recursion, 0
	.set _Z17testOperationsGPUI15HIP_vector_typeIyLj1EES1_EvPT_S3_i.has_indirect_call, 0
	.section	.AMDGPU.csdata,"",@progbits
; Kernel info:
; codeLenInByte = 116
; TotalNumSgprs: 10
; NumVgprs: 5
; ScratchSize: 0
; MemoryBound: 0
; FloatMode: 240
; IeeeMode: 1
; LDSByteSize: 0 bytes/workgroup (compile time only)
; SGPRBlocks: 1
; VGPRBlocks: 1
; NumSGPRsForWavesPerEU: 10
; NumVGPRsForWavesPerEU: 5
; Occupancy: 10
; WaveLimiterHint : 0
; COMPUTE_PGM_RSRC2:SCRATCH_EN: 0
; COMPUTE_PGM_RSRC2:USER_SGPR: 6
; COMPUTE_PGM_RSRC2:TRAP_HANDLER: 0
; COMPUTE_PGM_RSRC2:TGID_X_EN: 1
; COMPUTE_PGM_RSRC2:TGID_Y_EN: 0
; COMPUTE_PGM_RSRC2:TGID_Z_EN: 0
; COMPUTE_PGM_RSRC2:TIDIG_COMP_CNT: 0
	.section	.text._Z17testOperationsGPUI15HIP_vector_typeIyLj2EES0_IyLj1EEEvPT_S4_i,"axG",@progbits,_Z17testOperationsGPUI15HIP_vector_typeIyLj2EES0_IyLj1EEEvPT_S4_i,comdat
	.protected	_Z17testOperationsGPUI15HIP_vector_typeIyLj2EES0_IyLj1EEEvPT_S4_i ; -- Begin function _Z17testOperationsGPUI15HIP_vector_typeIyLj2EES0_IyLj1EEEvPT_S4_i
	.globl	_Z17testOperationsGPUI15HIP_vector_typeIyLj2EES0_IyLj1EEEvPT_S4_i
	.p2align	8
	.type	_Z17testOperationsGPUI15HIP_vector_typeIyLj2EES0_IyLj1EEEvPT_S4_i,@function
_Z17testOperationsGPUI15HIP_vector_typeIyLj2EES0_IyLj1EEEvPT_S4_i: ; @_Z17testOperationsGPUI15HIP_vector_typeIyLj2EES0_IyLj1EEEvPT_S4_i
; %bb.0:
	s_load_dword s0, s[4:5], 0x10
	s_waitcnt lgkmcnt(0)
	v_cmp_ge_i32_e32 vcc, s0, v0
	s_and_saveexec_b64 s[0:1], vcc
	s_cbranch_execz .LBB41_2
; %bb.1:
	s_load_dwordx4 s[0:3], s[4:5], 0x0
	v_lshlrev_b32_e32 v4, 4, v0
	s_waitcnt lgkmcnt(0)
	global_load_dwordx2 v[0:1], v4, s[2:3]
	global_load_dwordx2 v[2:3], v4, s[0:1]
	s_waitcnt vmcnt(0)
	v_add_co_u32_e32 v0, vcc, v0, v2
	v_addc_co_u32_e32 v1, vcc, v1, v3, vcc
	v_add_co_u32_e32 v0, vcc, 1, v0
	v_addc_co_u32_e32 v1, vcc, 0, v1, vcc
	global_store_dwordx2 v4, v[0:1], s[0:1]
	global_load_dwordx2 v[0:1], v4, s[2:3]
	s_waitcnt vmcnt(0)
	v_add_co_u32_e32 v0, vcc, 1, v0
	v_addc_co_u32_e32 v1, vcc, 0, v1, vcc
	global_store_dwordx2 v4, v[0:1], s[0:1] offset:8
	global_load_dwordx2 v[2:3], v4, s[2:3] offset:8
	s_nop 0
	global_store_dwordx2 v4, v[0:1], s[2:3]
	s_waitcnt vmcnt(1)
	global_store_dwordx2 v4, v[2:3], s[0:1]
.LBB41_2:
	s_endpgm
	.section	.rodata,"a",@progbits
	.p2align	6, 0x0
	.amdhsa_kernel _Z17testOperationsGPUI15HIP_vector_typeIyLj2EES0_IyLj1EEEvPT_S4_i
		.amdhsa_group_segment_fixed_size 0
		.amdhsa_private_segment_fixed_size 0
		.amdhsa_kernarg_size 20
		.amdhsa_user_sgpr_count 6
		.amdhsa_user_sgpr_private_segment_buffer 1
		.amdhsa_user_sgpr_dispatch_ptr 0
		.amdhsa_user_sgpr_queue_ptr 0
		.amdhsa_user_sgpr_kernarg_segment_ptr 1
		.amdhsa_user_sgpr_dispatch_id 0
		.amdhsa_user_sgpr_flat_scratch_init 0
		.amdhsa_user_sgpr_private_segment_size 0
		.amdhsa_uses_dynamic_stack 0
		.amdhsa_system_sgpr_private_segment_wavefront_offset 0
		.amdhsa_system_sgpr_workgroup_id_x 1
		.amdhsa_system_sgpr_workgroup_id_y 0
		.amdhsa_system_sgpr_workgroup_id_z 0
		.amdhsa_system_sgpr_workgroup_info 0
		.amdhsa_system_vgpr_workitem_id 0
		.amdhsa_next_free_vgpr 5
		.amdhsa_next_free_sgpr 6
		.amdhsa_reserve_vcc 1
		.amdhsa_reserve_flat_scratch 0
		.amdhsa_float_round_mode_32 0
		.amdhsa_float_round_mode_16_64 0
		.amdhsa_float_denorm_mode_32 3
		.amdhsa_float_denorm_mode_16_64 3
		.amdhsa_dx10_clamp 1
		.amdhsa_ieee_mode 1
		.amdhsa_fp16_overflow 0
		.amdhsa_exception_fp_ieee_invalid_op 0
		.amdhsa_exception_fp_denorm_src 0
		.amdhsa_exception_fp_ieee_div_zero 0
		.amdhsa_exception_fp_ieee_overflow 0
		.amdhsa_exception_fp_ieee_underflow 0
		.amdhsa_exception_fp_ieee_inexact 0
		.amdhsa_exception_int_div_zero 0
	.end_amdhsa_kernel
	.section	.text._Z17testOperationsGPUI15HIP_vector_typeIyLj2EES0_IyLj1EEEvPT_S4_i,"axG",@progbits,_Z17testOperationsGPUI15HIP_vector_typeIyLj2EES0_IyLj1EEEvPT_S4_i,comdat
.Lfunc_end41:
	.size	_Z17testOperationsGPUI15HIP_vector_typeIyLj2EES0_IyLj1EEEvPT_S4_i, .Lfunc_end41-_Z17testOperationsGPUI15HIP_vector_typeIyLj2EES0_IyLj1EEEvPT_S4_i
                                        ; -- End function
	.set _Z17testOperationsGPUI15HIP_vector_typeIyLj2EES0_IyLj1EEEvPT_S4_i.num_vgpr, 5
	.set _Z17testOperationsGPUI15HIP_vector_typeIyLj2EES0_IyLj1EEEvPT_S4_i.num_agpr, 0
	.set _Z17testOperationsGPUI15HIP_vector_typeIyLj2EES0_IyLj1EEEvPT_S4_i.numbered_sgpr, 6
	.set _Z17testOperationsGPUI15HIP_vector_typeIyLj2EES0_IyLj1EEEvPT_S4_i.num_named_barrier, 0
	.set _Z17testOperationsGPUI15HIP_vector_typeIyLj2EES0_IyLj1EEEvPT_S4_i.private_seg_size, 0
	.set _Z17testOperationsGPUI15HIP_vector_typeIyLj2EES0_IyLj1EEEvPT_S4_i.uses_vcc, 1
	.set _Z17testOperationsGPUI15HIP_vector_typeIyLj2EES0_IyLj1EEEvPT_S4_i.uses_flat_scratch, 0
	.set _Z17testOperationsGPUI15HIP_vector_typeIyLj2EES0_IyLj1EEEvPT_S4_i.has_dyn_sized_stack, 0
	.set _Z17testOperationsGPUI15HIP_vector_typeIyLj2EES0_IyLj1EEEvPT_S4_i.has_recursion, 0
	.set _Z17testOperationsGPUI15HIP_vector_typeIyLj2EES0_IyLj1EEEvPT_S4_i.has_indirect_call, 0
	.section	.AMDGPU.csdata,"",@progbits
; Kernel info:
; codeLenInByte = 148
; TotalNumSgprs: 10
; NumVgprs: 5
; ScratchSize: 0
; MemoryBound: 1
; FloatMode: 240
; IeeeMode: 1
; LDSByteSize: 0 bytes/workgroup (compile time only)
; SGPRBlocks: 1
; VGPRBlocks: 1
; NumSGPRsForWavesPerEU: 10
; NumVGPRsForWavesPerEU: 5
; Occupancy: 10
; WaveLimiterHint : 1
; COMPUTE_PGM_RSRC2:SCRATCH_EN: 0
; COMPUTE_PGM_RSRC2:USER_SGPR: 6
; COMPUTE_PGM_RSRC2:TRAP_HANDLER: 0
; COMPUTE_PGM_RSRC2:TGID_X_EN: 1
; COMPUTE_PGM_RSRC2:TGID_Y_EN: 0
; COMPUTE_PGM_RSRC2:TGID_Z_EN: 0
; COMPUTE_PGM_RSRC2:TIDIG_COMP_CNT: 0
	.section	.text._Z17testOperationsGPUI15HIP_vector_typeIyLj3EES0_IyLj1EEEvPT_S4_i,"axG",@progbits,_Z17testOperationsGPUI15HIP_vector_typeIyLj3EES0_IyLj1EEEvPT_S4_i,comdat
	.protected	_Z17testOperationsGPUI15HIP_vector_typeIyLj3EES0_IyLj1EEEvPT_S4_i ; -- Begin function _Z17testOperationsGPUI15HIP_vector_typeIyLj3EES0_IyLj1EEEvPT_S4_i
	.globl	_Z17testOperationsGPUI15HIP_vector_typeIyLj3EES0_IyLj1EEEvPT_S4_i
	.p2align	8
	.type	_Z17testOperationsGPUI15HIP_vector_typeIyLj3EES0_IyLj1EEEvPT_S4_i,@function
_Z17testOperationsGPUI15HIP_vector_typeIyLj3EES0_IyLj1EEEvPT_S4_i: ; @_Z17testOperationsGPUI15HIP_vector_typeIyLj3EES0_IyLj1EEEvPT_S4_i
; %bb.0:
	s_load_dword s0, s[4:5], 0x10
	s_waitcnt lgkmcnt(0)
	v_cmp_ge_i32_e32 vcc, s0, v0
	s_and_saveexec_b64 s[0:1], vcc
	s_cbranch_execz .LBB42_8
; %bb.1:
	s_load_dwordx4 s[0:3], s[4:5], 0x0
	s_waitcnt lgkmcnt(0)
	v_mov_b32_e32 v3, s2
	v_mov_b32_e32 v4, s3
	;; [unrolled: 1-line block ×4, first 2 shown]
	v_mad_u64_u32 v[6:7], s[0:1], v0, 24, v[3:4]
	v_mad_u64_u32 v[4:5], s[0:1], v0, 24, v[1:2]
	global_load_dwordx2 v[0:1], v[6:7], off
	global_load_dwordx2 v[2:3], v[4:5], off
	s_waitcnt vmcnt(0)
	v_add_co_u32_e32 v0, vcc, v0, v2
	v_addc_co_u32_e32 v1, vcc, v1, v3, vcc
	v_add_co_u32_e32 v0, vcc, 1, v0
	v_addc_co_u32_e32 v1, vcc, 0, v1, vcc
	global_store_dwordx2 v[4:5], v[0:1], off
	global_load_dwordx2 v[2:3], v[6:7], off
	s_waitcnt vmcnt(0)
	v_add_co_u32_e32 v8, vcc, 1, v2
	v_addc_co_u32_e32 v9, vcc, 0, v3, vcc
	global_store_dwordx2 v[4:5], v[8:9], off offset:8
	global_load_dwordx2 v[0:1], v[6:7], off offset:8
	s_waitcnt vmcnt(0)
	v_cmp_ne_u64_e32 vcc, 0, v[0:1]
	global_store_dwordx2 v[6:7], v[8:9], off
	v_mov_b32_e32 v8, 0
	v_mov_b32_e32 v9, 0
	global_store_dwordx2 v[4:5], v[0:1], off
	s_and_saveexec_b64 s[2:3], vcc
	s_cbranch_execz .LBB42_7
; %bb.2:
	global_load_dwordx2 v[8:9], v[6:7], off
	v_mov_b32_e32 v10, 0
	s_waitcnt vmcnt(0)
	v_or_b32_e32 v11, v9, v1
	v_cmp_ne_u64_e32 vcc, 0, v[10:11]
                                        ; implicit-def: $vgpr10_vgpr11
	s_and_saveexec_b64 s[0:1], vcc
	s_xor_b64 s[4:5], exec, s[0:1]
	s_cbranch_execz .LBB42_4
; %bb.3:
	v_cvt_f32_u32_e32 v10, v0
	v_cvt_f32_u32_e32 v11, v1
	v_sub_co_u32_e32 v16, vcc, 0, v0
	v_subb_co_u32_e32 v17, vcc, 0, v1, vcc
	v_madmk_f32 v10, v11, 0x4f800000, v10
	v_rcp_f32_e32 v10, v10
	v_mul_f32_e32 v10, 0x5f7ffffc, v10
	v_mul_f32_e32 v11, 0x2f800000, v10
	v_trunc_f32_e32 v11, v11
	v_madmk_f32 v10, v11, 0xcf800000, v10
	v_cvt_u32_f32_e32 v14, v11
	v_cvt_u32_f32_e32 v15, v10
	v_mul_lo_u32 v12, v16, v14
	v_mul_lo_u32 v13, v17, v15
	v_mad_u64_u32 v[10:11], s[0:1], v16, v15, 0
	v_add3_u32 v13, v11, v12, v13
	v_mul_hi_u32 v18, v15, v10
	v_mad_u64_u32 v[11:12], s[0:1], v15, v13, 0
	v_add_co_u32_e32 v18, vcc, v18, v11
	v_mad_u64_u32 v[10:11], s[0:1], v14, v10, 0
	v_addc_co_u32_e32 v19, vcc, 0, v12, vcc
	v_mad_u64_u32 v[12:13], s[0:1], v14, v13, 0
	v_add_co_u32_e32 v10, vcc, v18, v10
	v_addc_co_u32_e32 v10, vcc, v19, v11, vcc
	v_addc_co_u32_e32 v11, vcc, 0, v13, vcc
	v_add_co_u32_e32 v10, vcc, v10, v12
	v_addc_co_u32_e32 v11, vcc, 0, v11, vcc
	v_add_co_u32_e32 v18, vcc, v15, v10
	v_addc_co_u32_e32 v19, vcc, v14, v11, vcc
	v_mul_lo_u32 v12, v16, v19
	v_mul_lo_u32 v13, v17, v18
	v_mad_u64_u32 v[10:11], s[0:1], v16, v18, 0
	v_add3_u32 v13, v11, v12, v13
	v_mad_u64_u32 v[11:12], s[0:1], v19, v13, 0
	v_mad_u64_u32 v[13:14], s[0:1], v18, v13, 0
	v_mul_hi_u32 v17, v18, v10
	v_mad_u64_u32 v[15:16], s[0:1], v19, v10, 0
	v_add_co_u32_e32 v10, vcc, v17, v13
	v_addc_co_u32_e32 v13, vcc, 0, v14, vcc
	v_add_co_u32_e32 v10, vcc, v10, v15
	v_addc_co_u32_e32 v10, vcc, v13, v16, vcc
	v_addc_co_u32_e32 v12, vcc, 0, v12, vcc
	v_add_co_u32_e32 v10, vcc, v10, v11
	v_addc_co_u32_e32 v11, vcc, 0, v12, vcc
	v_add_co_u32_e32 v12, vcc, v18, v10
	v_addc_co_u32_e32 v13, vcc, v19, v11, vcc
	v_mad_u64_u32 v[10:11], s[0:1], v8, v13, 0
	v_mul_hi_u32 v14, v8, v12
	v_add_co_u32_e32 v14, vcc, v14, v10
	v_addc_co_u32_e32 v15, vcc, 0, v11, vcc
	v_mad_u64_u32 v[10:11], s[0:1], v9, v12, 0
	v_mad_u64_u32 v[12:13], s[0:1], v9, v13, 0
	v_add_co_u32_e32 v10, vcc, v14, v10
	v_addc_co_u32_e32 v10, vcc, v15, v11, vcc
	v_addc_co_u32_e32 v11, vcc, 0, v13, vcc
	v_add_co_u32_e32 v12, vcc, v10, v12
	v_addc_co_u32_e32 v13, vcc, 0, v11, vcc
	v_mul_lo_u32 v14, v1, v12
	v_mul_lo_u32 v15, v0, v13
	v_mad_u64_u32 v[10:11], s[0:1], v0, v12, 0
	v_add3_u32 v11, v11, v15, v14
	v_sub_u32_e32 v14, v9, v11
	v_sub_co_u32_e32 v8, vcc, v8, v10
	v_subb_co_u32_e64 v10, s[0:1], v14, v1, vcc
	v_sub_co_u32_e64 v14, s[0:1], v8, v0
	v_subbrev_co_u32_e64 v10, s[0:1], 0, v10, s[0:1]
	v_cmp_ge_u32_e64 s[0:1], v10, v1
	v_cndmask_b32_e64 v15, 0, -1, s[0:1]
	v_cmp_ge_u32_e64 s[0:1], v14, v0
	v_cndmask_b32_e64 v14, 0, -1, s[0:1]
	v_cmp_eq_u32_e64 s[0:1], v10, v1
	v_cndmask_b32_e64 v10, v15, v14, s[0:1]
	v_add_co_u32_e64 v14, s[0:1], 2, v12
	v_subb_co_u32_e32 v9, vcc, v9, v11, vcc
	v_addc_co_u32_e64 v15, s[0:1], 0, v13, s[0:1]
	v_cmp_ge_u32_e32 vcc, v9, v1
	v_add_co_u32_e64 v16, s[0:1], 1, v12
	v_cndmask_b32_e64 v11, 0, -1, vcc
	v_cmp_ge_u32_e32 vcc, v8, v0
	v_addc_co_u32_e64 v17, s[0:1], 0, v13, s[0:1]
	v_cndmask_b32_e64 v0, 0, -1, vcc
	v_cmp_eq_u32_e32 vcc, v9, v1
	v_cmp_ne_u32_e64 s[0:1], 0, v10
	v_cndmask_b32_e32 v0, v11, v0, vcc
	v_cndmask_b32_e64 v10, v17, v15, s[0:1]
	v_cmp_ne_u32_e32 vcc, 0, v0
	v_cndmask_b32_e64 v0, v16, v14, s[0:1]
	v_cndmask_b32_e32 v11, v13, v10, vcc
	v_cndmask_b32_e32 v10, v12, v0, vcc
                                        ; implicit-def: $vgpr0_vgpr1
                                        ; implicit-def: $vgpr8_vgpr9
.LBB42_4:
	s_andn2_saveexec_b64 s[0:1], s[4:5]
	s_cbranch_execz .LBB42_6
; %bb.5:
	v_cvt_f32_u32_e32 v1, v0
	v_sub_u32_e32 v9, 0, v0
	v_mov_b32_e32 v11, 0
	v_rcp_iflag_f32_e32 v1, v1
	v_mul_f32_e32 v1, 0x4f7ffffe, v1
	v_cvt_u32_f32_e32 v1, v1
	v_mul_lo_u32 v9, v9, v1
	v_mul_hi_u32 v9, v1, v9
	v_add_u32_e32 v1, v1, v9
	v_mul_hi_u32 v1, v8, v1
	v_mul_lo_u32 v9, v1, v0
	v_add_u32_e32 v10, 1, v1
	v_sub_u32_e32 v8, v8, v9
	v_sub_u32_e32 v9, v8, v0
	v_cmp_ge_u32_e32 vcc, v8, v0
	v_cndmask_b32_e32 v8, v8, v9, vcc
	v_cndmask_b32_e32 v1, v1, v10, vcc
	v_add_u32_e32 v9, 1, v1
	v_cmp_ge_u32_e32 vcc, v8, v0
	v_cndmask_b32_e32 v10, v1, v9, vcc
.LBB42_6:
	s_or_b64 exec, exec, s[0:1]
	global_store_dwordx2 v[6:7], v[10:11], off
	global_load_dwordx2 v[8:9], v[4:5], off
.LBB42_7:
	s_or_b64 exec, exec, s[2:3]
	global_load_dwordx2 v[0:1], v[6:7], off offset:16
	s_waitcnt vmcnt(0)
	v_mul_lo_u32 v6, v1, v8
	v_mul_lo_u32 v7, v0, v9
	v_mad_u64_u32 v[0:1], s[0:1], v0, v8, 0
	v_add3_u32 v1, v1, v7, v6
	global_store_dwordx4 v[4:5], v[0:3], off
.LBB42_8:
	s_endpgm
	.section	.rodata,"a",@progbits
	.p2align	6, 0x0
	.amdhsa_kernel _Z17testOperationsGPUI15HIP_vector_typeIyLj3EES0_IyLj1EEEvPT_S4_i
		.amdhsa_group_segment_fixed_size 0
		.amdhsa_private_segment_fixed_size 0
		.amdhsa_kernarg_size 20
		.amdhsa_user_sgpr_count 6
		.amdhsa_user_sgpr_private_segment_buffer 1
		.amdhsa_user_sgpr_dispatch_ptr 0
		.amdhsa_user_sgpr_queue_ptr 0
		.amdhsa_user_sgpr_kernarg_segment_ptr 1
		.amdhsa_user_sgpr_dispatch_id 0
		.amdhsa_user_sgpr_flat_scratch_init 0
		.amdhsa_user_sgpr_private_segment_size 0
		.amdhsa_uses_dynamic_stack 0
		.amdhsa_system_sgpr_private_segment_wavefront_offset 0
		.amdhsa_system_sgpr_workgroup_id_x 1
		.amdhsa_system_sgpr_workgroup_id_y 0
		.amdhsa_system_sgpr_workgroup_id_z 0
		.amdhsa_system_sgpr_workgroup_info 0
		.amdhsa_system_vgpr_workitem_id 0
		.amdhsa_next_free_vgpr 20
		.amdhsa_next_free_sgpr 6
		.amdhsa_reserve_vcc 1
		.amdhsa_reserve_flat_scratch 0
		.amdhsa_float_round_mode_32 0
		.amdhsa_float_round_mode_16_64 0
		.amdhsa_float_denorm_mode_32 3
		.amdhsa_float_denorm_mode_16_64 3
		.amdhsa_dx10_clamp 1
		.amdhsa_ieee_mode 1
		.amdhsa_fp16_overflow 0
		.amdhsa_exception_fp_ieee_invalid_op 0
		.amdhsa_exception_fp_denorm_src 0
		.amdhsa_exception_fp_ieee_div_zero 0
		.amdhsa_exception_fp_ieee_overflow 0
		.amdhsa_exception_fp_ieee_underflow 0
		.amdhsa_exception_fp_ieee_inexact 0
		.amdhsa_exception_int_div_zero 0
	.end_amdhsa_kernel
	.section	.text._Z17testOperationsGPUI15HIP_vector_typeIyLj3EES0_IyLj1EEEvPT_S4_i,"axG",@progbits,_Z17testOperationsGPUI15HIP_vector_typeIyLj3EES0_IyLj1EEEvPT_S4_i,comdat
.Lfunc_end42:
	.size	_Z17testOperationsGPUI15HIP_vector_typeIyLj3EES0_IyLj1EEEvPT_S4_i, .Lfunc_end42-_Z17testOperationsGPUI15HIP_vector_typeIyLj3EES0_IyLj1EEEvPT_S4_i
                                        ; -- End function
	.set _Z17testOperationsGPUI15HIP_vector_typeIyLj3EES0_IyLj1EEEvPT_S4_i.num_vgpr, 20
	.set _Z17testOperationsGPUI15HIP_vector_typeIyLj3EES0_IyLj1EEEvPT_S4_i.num_agpr, 0
	.set _Z17testOperationsGPUI15HIP_vector_typeIyLj3EES0_IyLj1EEEvPT_S4_i.numbered_sgpr, 6
	.set _Z17testOperationsGPUI15HIP_vector_typeIyLj3EES0_IyLj1EEEvPT_S4_i.num_named_barrier, 0
	.set _Z17testOperationsGPUI15HIP_vector_typeIyLj3EES0_IyLj1EEEvPT_S4_i.private_seg_size, 0
	.set _Z17testOperationsGPUI15HIP_vector_typeIyLj3EES0_IyLj1EEEvPT_S4_i.uses_vcc, 1
	.set _Z17testOperationsGPUI15HIP_vector_typeIyLj3EES0_IyLj1EEEvPT_S4_i.uses_flat_scratch, 0
	.set _Z17testOperationsGPUI15HIP_vector_typeIyLj3EES0_IyLj1EEEvPT_S4_i.has_dyn_sized_stack, 0
	.set _Z17testOperationsGPUI15HIP_vector_typeIyLj3EES0_IyLj1EEEvPT_S4_i.has_recursion, 0
	.set _Z17testOperationsGPUI15HIP_vector_typeIyLj3EES0_IyLj1EEEvPT_S4_i.has_indirect_call, 0
	.section	.AMDGPU.csdata,"",@progbits
; Kernel info:
; codeLenInByte = 960
; TotalNumSgprs: 10
; NumVgprs: 20
; ScratchSize: 0
; MemoryBound: 0
; FloatMode: 240
; IeeeMode: 1
; LDSByteSize: 0 bytes/workgroup (compile time only)
; SGPRBlocks: 1
; VGPRBlocks: 4
; NumSGPRsForWavesPerEU: 10
; NumVGPRsForWavesPerEU: 20
; Occupancy: 10
; WaveLimiterHint : 0
; COMPUTE_PGM_RSRC2:SCRATCH_EN: 0
; COMPUTE_PGM_RSRC2:USER_SGPR: 6
; COMPUTE_PGM_RSRC2:TRAP_HANDLER: 0
; COMPUTE_PGM_RSRC2:TGID_X_EN: 1
; COMPUTE_PGM_RSRC2:TGID_Y_EN: 0
; COMPUTE_PGM_RSRC2:TGID_Z_EN: 0
; COMPUTE_PGM_RSRC2:TIDIG_COMP_CNT: 0
	.section	.text._Z17testOperationsGPUI15HIP_vector_typeIyLj4EES0_IyLj1EEEvPT_S4_i,"axG",@progbits,_Z17testOperationsGPUI15HIP_vector_typeIyLj4EES0_IyLj1EEEvPT_S4_i,comdat
	.protected	_Z17testOperationsGPUI15HIP_vector_typeIyLj4EES0_IyLj1EEEvPT_S4_i ; -- Begin function _Z17testOperationsGPUI15HIP_vector_typeIyLj4EES0_IyLj1EEEvPT_S4_i
	.globl	_Z17testOperationsGPUI15HIP_vector_typeIyLj4EES0_IyLj1EEEvPT_S4_i
	.p2align	8
	.type	_Z17testOperationsGPUI15HIP_vector_typeIyLj4EES0_IyLj1EEEvPT_S4_i,@function
_Z17testOperationsGPUI15HIP_vector_typeIyLj4EES0_IyLj1EEEvPT_S4_i: ; @_Z17testOperationsGPUI15HIP_vector_typeIyLj4EES0_IyLj1EEEvPT_S4_i
; %bb.0:
	s_load_dword s0, s[4:5], 0x10
	s_waitcnt lgkmcnt(0)
	v_cmp_ge_i32_e32 vcc, s0, v0
	s_and_saveexec_b64 s[0:1], vcc
	s_cbranch_execz .LBB43_8
; %bb.1:
	s_load_dwordx4 s[0:3], s[4:5], 0x0
	v_lshlrev_b32_e32 v11, 5, v0
	v_mov_b32_e32 v10, 0
	s_waitcnt lgkmcnt(0)
	global_load_dwordx2 v[0:1], v11, s[2:3]
	global_load_dwordx2 v[2:3], v11, s[0:1]
	v_mov_b32_e32 v5, s1
	v_mov_b32_e32 v7, s3
	s_waitcnt vmcnt(0)
	v_add_co_u32_e32 v0, vcc, v0, v2
	v_addc_co_u32_e32 v1, vcc, v1, v3, vcc
	v_add_co_u32_e32 v0, vcc, 1, v0
	v_addc_co_u32_e32 v1, vcc, 0, v1, vcc
	global_store_dwordx2 v11, v[0:1], s[0:1]
	global_load_dwordx2 v[2:3], v11, s[2:3]
	s_waitcnt vmcnt(0)
	v_add_co_u32_e32 v8, vcc, 1, v2
	v_addc_co_u32_e32 v9, vcc, 0, v3, vcc
	global_store_dwordx2 v11, v[8:9], s[0:1] offset:8
	global_load_dwordx2 v[0:1], v11, s[2:3] offset:8
	v_add_co_u32_e32 v4, vcc, s0, v11
	v_addc_co_u32_e32 v5, vcc, 0, v5, vcc
	v_add_co_u32_e32 v6, vcc, s2, v11
	v_addc_co_u32_e32 v7, vcc, 0, v7, vcc
	global_store_dwordx2 v11, v[8:9], s[2:3]
	v_mov_b32_e32 v8, 0
	v_mov_b32_e32 v9, 0
	s_waitcnt vmcnt(1)
	v_cmp_ne_u64_e32 vcc, 0, v[0:1]
	global_store_dwordx2 v11, v[0:1], s[0:1]
	s_and_saveexec_b64 s[2:3], vcc
	s_cbranch_execz .LBB43_7
; %bb.2:
	global_load_dwordx2 v[8:9], v[6:7], off
	s_waitcnt vmcnt(0)
	v_or_b32_e32 v11, v9, v1
	v_cmp_ne_u64_e32 vcc, 0, v[10:11]
                                        ; implicit-def: $vgpr10_vgpr11
	s_and_saveexec_b64 s[0:1], vcc
	s_xor_b64 s[4:5], exec, s[0:1]
	s_cbranch_execz .LBB43_4
; %bb.3:
	v_cvt_f32_u32_e32 v10, v0
	v_cvt_f32_u32_e32 v11, v1
	v_sub_co_u32_e32 v16, vcc, 0, v0
	v_subb_co_u32_e32 v17, vcc, 0, v1, vcc
	v_madmk_f32 v10, v11, 0x4f800000, v10
	v_rcp_f32_e32 v10, v10
	v_mul_f32_e32 v10, 0x5f7ffffc, v10
	v_mul_f32_e32 v11, 0x2f800000, v10
	v_trunc_f32_e32 v11, v11
	v_madmk_f32 v10, v11, 0xcf800000, v10
	v_cvt_u32_f32_e32 v14, v11
	v_cvt_u32_f32_e32 v15, v10
	v_mul_lo_u32 v12, v16, v14
	v_mul_lo_u32 v13, v17, v15
	v_mad_u64_u32 v[10:11], s[0:1], v16, v15, 0
	v_add3_u32 v13, v11, v12, v13
	v_mul_hi_u32 v18, v15, v10
	v_mad_u64_u32 v[11:12], s[0:1], v15, v13, 0
	v_add_co_u32_e32 v18, vcc, v18, v11
	v_mad_u64_u32 v[10:11], s[0:1], v14, v10, 0
	v_addc_co_u32_e32 v19, vcc, 0, v12, vcc
	v_mad_u64_u32 v[12:13], s[0:1], v14, v13, 0
	v_add_co_u32_e32 v10, vcc, v18, v10
	v_addc_co_u32_e32 v10, vcc, v19, v11, vcc
	v_addc_co_u32_e32 v11, vcc, 0, v13, vcc
	v_add_co_u32_e32 v10, vcc, v10, v12
	v_addc_co_u32_e32 v11, vcc, 0, v11, vcc
	v_add_co_u32_e32 v18, vcc, v15, v10
	v_addc_co_u32_e32 v19, vcc, v14, v11, vcc
	v_mul_lo_u32 v12, v16, v19
	v_mul_lo_u32 v13, v17, v18
	v_mad_u64_u32 v[10:11], s[0:1], v16, v18, 0
	v_add3_u32 v13, v11, v12, v13
	v_mad_u64_u32 v[11:12], s[0:1], v19, v13, 0
	v_mad_u64_u32 v[13:14], s[0:1], v18, v13, 0
	v_mul_hi_u32 v17, v18, v10
	v_mad_u64_u32 v[15:16], s[0:1], v19, v10, 0
	v_add_co_u32_e32 v10, vcc, v17, v13
	v_addc_co_u32_e32 v13, vcc, 0, v14, vcc
	v_add_co_u32_e32 v10, vcc, v10, v15
	v_addc_co_u32_e32 v10, vcc, v13, v16, vcc
	v_addc_co_u32_e32 v12, vcc, 0, v12, vcc
	v_add_co_u32_e32 v10, vcc, v10, v11
	v_addc_co_u32_e32 v11, vcc, 0, v12, vcc
	v_add_co_u32_e32 v12, vcc, v18, v10
	v_addc_co_u32_e32 v13, vcc, v19, v11, vcc
	v_mad_u64_u32 v[10:11], s[0:1], v8, v13, 0
	v_mul_hi_u32 v14, v8, v12
	v_add_co_u32_e32 v14, vcc, v14, v10
	v_addc_co_u32_e32 v15, vcc, 0, v11, vcc
	v_mad_u64_u32 v[10:11], s[0:1], v9, v12, 0
	v_mad_u64_u32 v[12:13], s[0:1], v9, v13, 0
	v_add_co_u32_e32 v10, vcc, v14, v10
	v_addc_co_u32_e32 v10, vcc, v15, v11, vcc
	v_addc_co_u32_e32 v11, vcc, 0, v13, vcc
	v_add_co_u32_e32 v12, vcc, v10, v12
	v_addc_co_u32_e32 v13, vcc, 0, v11, vcc
	v_mul_lo_u32 v14, v1, v12
	v_mul_lo_u32 v15, v0, v13
	v_mad_u64_u32 v[10:11], s[0:1], v0, v12, 0
	v_add3_u32 v11, v11, v15, v14
	v_sub_u32_e32 v14, v9, v11
	v_sub_co_u32_e32 v8, vcc, v8, v10
	v_subb_co_u32_e64 v10, s[0:1], v14, v1, vcc
	v_sub_co_u32_e64 v14, s[0:1], v8, v0
	v_subbrev_co_u32_e64 v10, s[0:1], 0, v10, s[0:1]
	v_cmp_ge_u32_e64 s[0:1], v10, v1
	v_cndmask_b32_e64 v15, 0, -1, s[0:1]
	v_cmp_ge_u32_e64 s[0:1], v14, v0
	v_cndmask_b32_e64 v14, 0, -1, s[0:1]
	v_cmp_eq_u32_e64 s[0:1], v10, v1
	v_cndmask_b32_e64 v10, v15, v14, s[0:1]
	v_add_co_u32_e64 v14, s[0:1], 2, v12
	v_subb_co_u32_e32 v9, vcc, v9, v11, vcc
	v_addc_co_u32_e64 v15, s[0:1], 0, v13, s[0:1]
	v_cmp_ge_u32_e32 vcc, v9, v1
	v_add_co_u32_e64 v16, s[0:1], 1, v12
	v_cndmask_b32_e64 v11, 0, -1, vcc
	v_cmp_ge_u32_e32 vcc, v8, v0
	v_addc_co_u32_e64 v17, s[0:1], 0, v13, s[0:1]
	v_cndmask_b32_e64 v0, 0, -1, vcc
	v_cmp_eq_u32_e32 vcc, v9, v1
	v_cmp_ne_u32_e64 s[0:1], 0, v10
	v_cndmask_b32_e32 v0, v11, v0, vcc
	v_cndmask_b32_e64 v10, v17, v15, s[0:1]
	v_cmp_ne_u32_e32 vcc, 0, v0
	v_cndmask_b32_e64 v0, v16, v14, s[0:1]
	v_cndmask_b32_e32 v11, v13, v10, vcc
	v_cndmask_b32_e32 v10, v12, v0, vcc
                                        ; implicit-def: $vgpr0_vgpr1
                                        ; implicit-def: $vgpr8_vgpr9
.LBB43_4:
	s_andn2_saveexec_b64 s[0:1], s[4:5]
	s_cbranch_execz .LBB43_6
; %bb.5:
	v_cvt_f32_u32_e32 v1, v0
	v_sub_u32_e32 v9, 0, v0
	v_mov_b32_e32 v11, 0
	v_rcp_iflag_f32_e32 v1, v1
	v_mul_f32_e32 v1, 0x4f7ffffe, v1
	v_cvt_u32_f32_e32 v1, v1
	v_mul_lo_u32 v9, v9, v1
	v_mul_hi_u32 v9, v1, v9
	v_add_u32_e32 v1, v1, v9
	v_mul_hi_u32 v1, v8, v1
	v_mul_lo_u32 v9, v1, v0
	v_add_u32_e32 v10, 1, v1
	v_sub_u32_e32 v8, v8, v9
	v_sub_u32_e32 v9, v8, v0
	v_cmp_ge_u32_e32 vcc, v8, v0
	v_cndmask_b32_e32 v8, v8, v9, vcc
	v_cndmask_b32_e32 v1, v1, v10, vcc
	v_add_u32_e32 v9, 1, v1
	v_cmp_ge_u32_e32 vcc, v8, v0
	v_cndmask_b32_e32 v10, v1, v9, vcc
.LBB43_6:
	s_or_b64 exec, exec, s[0:1]
	global_store_dwordx2 v[6:7], v[10:11], off
	global_load_dwordx2 v[8:9], v[4:5], off
.LBB43_7:
	s_or_b64 exec, exec, s[2:3]
	global_load_dwordx2 v[0:1], v[6:7], off offset:16
	s_waitcnt vmcnt(0)
	v_mul_lo_u32 v10, v1, v8
	v_mul_lo_u32 v9, v0, v9
	v_mad_u64_u32 v[0:1], s[0:1], v0, v8, 0
	v_add3_u32 v1, v1, v9, v10
	global_store_dwordx4 v[4:5], v[0:3], off
	global_store_dwordx2 v[6:7], v[0:1], off offset:24
	global_load_dwordx2 v[0:1], v[6:7], off offset:8
	s_nop 0
	global_load_dwordx2 v[2:3], v[4:5], off offset:24
	s_waitcnt vmcnt(0)
	v_sub_co_u32_e32 v0, vcc, v2, v0
	v_subb_co_u32_e32 v1, vcc, v3, v1, vcc
	global_store_dwordx2 v[4:5], v[0:1], off offset:24
.LBB43_8:
	s_endpgm
	.section	.rodata,"a",@progbits
	.p2align	6, 0x0
	.amdhsa_kernel _Z17testOperationsGPUI15HIP_vector_typeIyLj4EES0_IyLj1EEEvPT_S4_i
		.amdhsa_group_segment_fixed_size 0
		.amdhsa_private_segment_fixed_size 0
		.amdhsa_kernarg_size 20
		.amdhsa_user_sgpr_count 6
		.amdhsa_user_sgpr_private_segment_buffer 1
		.amdhsa_user_sgpr_dispatch_ptr 0
		.amdhsa_user_sgpr_queue_ptr 0
		.amdhsa_user_sgpr_kernarg_segment_ptr 1
		.amdhsa_user_sgpr_dispatch_id 0
		.amdhsa_user_sgpr_flat_scratch_init 0
		.amdhsa_user_sgpr_private_segment_size 0
		.amdhsa_uses_dynamic_stack 0
		.amdhsa_system_sgpr_private_segment_wavefront_offset 0
		.amdhsa_system_sgpr_workgroup_id_x 1
		.amdhsa_system_sgpr_workgroup_id_y 0
		.amdhsa_system_sgpr_workgroup_id_z 0
		.amdhsa_system_sgpr_workgroup_info 0
		.amdhsa_system_vgpr_workitem_id 0
		.amdhsa_next_free_vgpr 20
		.amdhsa_next_free_sgpr 6
		.amdhsa_reserve_vcc 1
		.amdhsa_reserve_flat_scratch 0
		.amdhsa_float_round_mode_32 0
		.amdhsa_float_round_mode_16_64 0
		.amdhsa_float_denorm_mode_32 3
		.amdhsa_float_denorm_mode_16_64 3
		.amdhsa_dx10_clamp 1
		.amdhsa_ieee_mode 1
		.amdhsa_fp16_overflow 0
		.amdhsa_exception_fp_ieee_invalid_op 0
		.amdhsa_exception_fp_denorm_src 0
		.amdhsa_exception_fp_ieee_div_zero 0
		.amdhsa_exception_fp_ieee_overflow 0
		.amdhsa_exception_fp_ieee_underflow 0
		.amdhsa_exception_fp_ieee_inexact 0
		.amdhsa_exception_int_div_zero 0
	.end_amdhsa_kernel
	.section	.text._Z17testOperationsGPUI15HIP_vector_typeIyLj4EES0_IyLj1EEEvPT_S4_i,"axG",@progbits,_Z17testOperationsGPUI15HIP_vector_typeIyLj4EES0_IyLj1EEEvPT_S4_i,comdat
.Lfunc_end43:
	.size	_Z17testOperationsGPUI15HIP_vector_typeIyLj4EES0_IyLj1EEEvPT_S4_i, .Lfunc_end43-_Z17testOperationsGPUI15HIP_vector_typeIyLj4EES0_IyLj1EEEvPT_S4_i
                                        ; -- End function
	.set _Z17testOperationsGPUI15HIP_vector_typeIyLj4EES0_IyLj1EEEvPT_S4_i.num_vgpr, 20
	.set _Z17testOperationsGPUI15HIP_vector_typeIyLj4EES0_IyLj1EEEvPT_S4_i.num_agpr, 0
	.set _Z17testOperationsGPUI15HIP_vector_typeIyLj4EES0_IyLj1EEEvPT_S4_i.numbered_sgpr, 6
	.set _Z17testOperationsGPUI15HIP_vector_typeIyLj4EES0_IyLj1EEEvPT_S4_i.num_named_barrier, 0
	.set _Z17testOperationsGPUI15HIP_vector_typeIyLj4EES0_IyLj1EEEvPT_S4_i.private_seg_size, 0
	.set _Z17testOperationsGPUI15HIP_vector_typeIyLj4EES0_IyLj1EEEvPT_S4_i.uses_vcc, 1
	.set _Z17testOperationsGPUI15HIP_vector_typeIyLj4EES0_IyLj1EEEvPT_S4_i.uses_flat_scratch, 0
	.set _Z17testOperationsGPUI15HIP_vector_typeIyLj4EES0_IyLj1EEEvPT_S4_i.has_dyn_sized_stack, 0
	.set _Z17testOperationsGPUI15HIP_vector_typeIyLj4EES0_IyLj1EEEvPT_S4_i.has_recursion, 0
	.set _Z17testOperationsGPUI15HIP_vector_typeIyLj4EES0_IyLj1EEEvPT_S4_i.has_indirect_call, 0
	.section	.AMDGPU.csdata,"",@progbits
; Kernel info:
; codeLenInByte = 1004
; TotalNumSgprs: 10
; NumVgprs: 20
; ScratchSize: 0
; MemoryBound: 0
; FloatMode: 240
; IeeeMode: 1
; LDSByteSize: 0 bytes/workgroup (compile time only)
; SGPRBlocks: 1
; VGPRBlocks: 4
; NumSGPRsForWavesPerEU: 10
; NumVGPRsForWavesPerEU: 20
; Occupancy: 10
; WaveLimiterHint : 0
; COMPUTE_PGM_RSRC2:SCRATCH_EN: 0
; COMPUTE_PGM_RSRC2:USER_SGPR: 6
; COMPUTE_PGM_RSRC2:TRAP_HANDLER: 0
; COMPUTE_PGM_RSRC2:TGID_X_EN: 1
; COMPUTE_PGM_RSRC2:TGID_Y_EN: 0
; COMPUTE_PGM_RSRC2:TGID_Z_EN: 0
; COMPUTE_PGM_RSRC2:TIDIG_COMP_CNT: 0
	.section	.text._Z17testOperationsGPUI15HIP_vector_typeItLj1EES1_EvPT_S3_i,"axG",@progbits,_Z17testOperationsGPUI15HIP_vector_typeItLj1EES1_EvPT_S3_i,comdat
	.protected	_Z17testOperationsGPUI15HIP_vector_typeItLj1EES1_EvPT_S3_i ; -- Begin function _Z17testOperationsGPUI15HIP_vector_typeItLj1EES1_EvPT_S3_i
	.globl	_Z17testOperationsGPUI15HIP_vector_typeItLj1EES1_EvPT_S3_i
	.p2align	8
	.type	_Z17testOperationsGPUI15HIP_vector_typeItLj1EES1_EvPT_S3_i,@function
_Z17testOperationsGPUI15HIP_vector_typeItLj1EES1_EvPT_S3_i: ; @_Z17testOperationsGPUI15HIP_vector_typeItLj1EES1_EvPT_S3_i
; %bb.0:
	s_load_dword s0, s[4:5], 0x10
	s_waitcnt lgkmcnt(0)
	v_cmp_ge_i32_e32 vcc, s0, v0
	s_and_saveexec_b64 s[0:1], vcc
	s_cbranch_execz .LBB44_2
; %bb.1:
	s_load_dwordx4 s[0:3], s[4:5], 0x0
	v_lshlrev_b32_e32 v0, 1, v0
	s_waitcnt lgkmcnt(0)
	global_load_ushort v1, v0, s[2:3]
	global_load_ushort v2, v0, s[0:1]
	s_waitcnt vmcnt(0)
	v_add_u16_e32 v1, v1, v2
	v_add_u16_e32 v1, 1, v1
	global_store_short v0, v1, s[0:1]
	global_load_ushort v1, v0, s[2:3]
	s_waitcnt vmcnt(0)
	v_add_u16_e32 v1, 1, v1
	global_store_short v0, v1, s[2:3]
.LBB44_2:
	s_endpgm
	.section	.rodata,"a",@progbits
	.p2align	6, 0x0
	.amdhsa_kernel _Z17testOperationsGPUI15HIP_vector_typeItLj1EES1_EvPT_S3_i
		.amdhsa_group_segment_fixed_size 0
		.amdhsa_private_segment_fixed_size 0
		.amdhsa_kernarg_size 20
		.amdhsa_user_sgpr_count 6
		.amdhsa_user_sgpr_private_segment_buffer 1
		.amdhsa_user_sgpr_dispatch_ptr 0
		.amdhsa_user_sgpr_queue_ptr 0
		.amdhsa_user_sgpr_kernarg_segment_ptr 1
		.amdhsa_user_sgpr_dispatch_id 0
		.amdhsa_user_sgpr_flat_scratch_init 0
		.amdhsa_user_sgpr_private_segment_size 0
		.amdhsa_uses_dynamic_stack 0
		.amdhsa_system_sgpr_private_segment_wavefront_offset 0
		.amdhsa_system_sgpr_workgroup_id_x 1
		.amdhsa_system_sgpr_workgroup_id_y 0
		.amdhsa_system_sgpr_workgroup_id_z 0
		.amdhsa_system_sgpr_workgroup_info 0
		.amdhsa_system_vgpr_workitem_id 0
		.amdhsa_next_free_vgpr 3
		.amdhsa_next_free_sgpr 6
		.amdhsa_reserve_vcc 1
		.amdhsa_reserve_flat_scratch 0
		.amdhsa_float_round_mode_32 0
		.amdhsa_float_round_mode_16_64 0
		.amdhsa_float_denorm_mode_32 3
		.amdhsa_float_denorm_mode_16_64 3
		.amdhsa_dx10_clamp 1
		.amdhsa_ieee_mode 1
		.amdhsa_fp16_overflow 0
		.amdhsa_exception_fp_ieee_invalid_op 0
		.amdhsa_exception_fp_denorm_src 0
		.amdhsa_exception_fp_ieee_div_zero 0
		.amdhsa_exception_fp_ieee_overflow 0
		.amdhsa_exception_fp_ieee_underflow 0
		.amdhsa_exception_fp_ieee_inexact 0
		.amdhsa_exception_int_div_zero 0
	.end_amdhsa_kernel
	.section	.text._Z17testOperationsGPUI15HIP_vector_typeItLj1EES1_EvPT_S3_i,"axG",@progbits,_Z17testOperationsGPUI15HIP_vector_typeItLj1EES1_EvPT_S3_i,comdat
.Lfunc_end44:
	.size	_Z17testOperationsGPUI15HIP_vector_typeItLj1EES1_EvPT_S3_i, .Lfunc_end44-_Z17testOperationsGPUI15HIP_vector_typeItLj1EES1_EvPT_S3_i
                                        ; -- End function
	.set _Z17testOperationsGPUI15HIP_vector_typeItLj1EES1_EvPT_S3_i.num_vgpr, 3
	.set _Z17testOperationsGPUI15HIP_vector_typeItLj1EES1_EvPT_S3_i.num_agpr, 0
	.set _Z17testOperationsGPUI15HIP_vector_typeItLj1EES1_EvPT_S3_i.numbered_sgpr, 6
	.set _Z17testOperationsGPUI15HIP_vector_typeItLj1EES1_EvPT_S3_i.num_named_barrier, 0
	.set _Z17testOperationsGPUI15HIP_vector_typeItLj1EES1_EvPT_S3_i.private_seg_size, 0
	.set _Z17testOperationsGPUI15HIP_vector_typeItLj1EES1_EvPT_S3_i.uses_vcc, 1
	.set _Z17testOperationsGPUI15HIP_vector_typeItLj1EES1_EvPT_S3_i.uses_flat_scratch, 0
	.set _Z17testOperationsGPUI15HIP_vector_typeItLj1EES1_EvPT_S3_i.has_dyn_sized_stack, 0
	.set _Z17testOperationsGPUI15HIP_vector_typeItLj1EES1_EvPT_S3_i.has_recursion, 0
	.set _Z17testOperationsGPUI15HIP_vector_typeItLj1EES1_EvPT_S3_i.has_indirect_call, 0
	.section	.AMDGPU.csdata,"",@progbits
; Kernel info:
; codeLenInByte = 104
; TotalNumSgprs: 10
; NumVgprs: 3
; ScratchSize: 0
; MemoryBound: 0
; FloatMode: 240
; IeeeMode: 1
; LDSByteSize: 0 bytes/workgroup (compile time only)
; SGPRBlocks: 1
; VGPRBlocks: 0
; NumSGPRsForWavesPerEU: 10
; NumVGPRsForWavesPerEU: 3
; Occupancy: 10
; WaveLimiterHint : 0
; COMPUTE_PGM_RSRC2:SCRATCH_EN: 0
; COMPUTE_PGM_RSRC2:USER_SGPR: 6
; COMPUTE_PGM_RSRC2:TRAP_HANDLER: 0
; COMPUTE_PGM_RSRC2:TGID_X_EN: 1
; COMPUTE_PGM_RSRC2:TGID_Y_EN: 0
; COMPUTE_PGM_RSRC2:TGID_Z_EN: 0
; COMPUTE_PGM_RSRC2:TIDIG_COMP_CNT: 0
	.section	.text._Z17testOperationsGPUI15HIP_vector_typeItLj2EES0_ItLj1EEEvPT_S4_i,"axG",@progbits,_Z17testOperationsGPUI15HIP_vector_typeItLj2EES0_ItLj1EEEvPT_S4_i,comdat
	.protected	_Z17testOperationsGPUI15HIP_vector_typeItLj2EES0_ItLj1EEEvPT_S4_i ; -- Begin function _Z17testOperationsGPUI15HIP_vector_typeItLj2EES0_ItLj1EEEvPT_S4_i
	.globl	_Z17testOperationsGPUI15HIP_vector_typeItLj2EES0_ItLj1EEEvPT_S4_i
	.p2align	8
	.type	_Z17testOperationsGPUI15HIP_vector_typeItLj2EES0_ItLj1EEEvPT_S4_i,@function
_Z17testOperationsGPUI15HIP_vector_typeItLj2EES0_ItLj1EEEvPT_S4_i: ; @_Z17testOperationsGPUI15HIP_vector_typeItLj2EES0_ItLj1EEEvPT_S4_i
; %bb.0:
	s_load_dword s0, s[4:5], 0x10
	s_waitcnt lgkmcnt(0)
	v_cmp_ge_i32_e32 vcc, s0, v0
	s_and_saveexec_b64 s[0:1], vcc
	s_cbranch_execz .LBB45_2
; %bb.1:
	s_load_dwordx4 s[0:3], s[4:5], 0x0
	v_lshlrev_b32_e32 v0, 2, v0
	s_waitcnt lgkmcnt(0)
	global_load_ushort v1, v0, s[2:3]
	global_load_ushort v2, v0, s[0:1]
	s_waitcnt vmcnt(0)
	v_add_u16_e32 v1, v1, v2
	v_add_u16_e32 v1, 1, v1
	global_store_short v0, v1, s[0:1]
	global_load_ushort v1, v0, s[2:3]
	s_waitcnt vmcnt(0)
	v_add_u16_e32 v1, 1, v1
	global_store_short v0, v1, s[0:1] offset:2
	global_load_ushort v2, v0, s[2:3] offset:2
	s_nop 0
	global_store_short v0, v1, s[2:3]
	s_waitcnt vmcnt(1)
	global_store_short v0, v2, s[0:1]
.LBB45_2:
	s_endpgm
	.section	.rodata,"a",@progbits
	.p2align	6, 0x0
	.amdhsa_kernel _Z17testOperationsGPUI15HIP_vector_typeItLj2EES0_ItLj1EEEvPT_S4_i
		.amdhsa_group_segment_fixed_size 0
		.amdhsa_private_segment_fixed_size 0
		.amdhsa_kernarg_size 20
		.amdhsa_user_sgpr_count 6
		.amdhsa_user_sgpr_private_segment_buffer 1
		.amdhsa_user_sgpr_dispatch_ptr 0
		.amdhsa_user_sgpr_queue_ptr 0
		.amdhsa_user_sgpr_kernarg_segment_ptr 1
		.amdhsa_user_sgpr_dispatch_id 0
		.amdhsa_user_sgpr_flat_scratch_init 0
		.amdhsa_user_sgpr_private_segment_size 0
		.amdhsa_uses_dynamic_stack 0
		.amdhsa_system_sgpr_private_segment_wavefront_offset 0
		.amdhsa_system_sgpr_workgroup_id_x 1
		.amdhsa_system_sgpr_workgroup_id_y 0
		.amdhsa_system_sgpr_workgroup_id_z 0
		.amdhsa_system_sgpr_workgroup_info 0
		.amdhsa_system_vgpr_workitem_id 0
		.amdhsa_next_free_vgpr 3
		.amdhsa_next_free_sgpr 6
		.amdhsa_reserve_vcc 1
		.amdhsa_reserve_flat_scratch 0
		.amdhsa_float_round_mode_32 0
		.amdhsa_float_round_mode_16_64 0
		.amdhsa_float_denorm_mode_32 3
		.amdhsa_float_denorm_mode_16_64 3
		.amdhsa_dx10_clamp 1
		.amdhsa_ieee_mode 1
		.amdhsa_fp16_overflow 0
		.amdhsa_exception_fp_ieee_invalid_op 0
		.amdhsa_exception_fp_denorm_src 0
		.amdhsa_exception_fp_ieee_div_zero 0
		.amdhsa_exception_fp_ieee_overflow 0
		.amdhsa_exception_fp_ieee_underflow 0
		.amdhsa_exception_fp_ieee_inexact 0
		.amdhsa_exception_int_div_zero 0
	.end_amdhsa_kernel
	.section	.text._Z17testOperationsGPUI15HIP_vector_typeItLj2EES0_ItLj1EEEvPT_S4_i,"axG",@progbits,_Z17testOperationsGPUI15HIP_vector_typeItLj2EES0_ItLj1EEEvPT_S4_i,comdat
.Lfunc_end45:
	.size	_Z17testOperationsGPUI15HIP_vector_typeItLj2EES0_ItLj1EEEvPT_S4_i, .Lfunc_end45-_Z17testOperationsGPUI15HIP_vector_typeItLj2EES0_ItLj1EEEvPT_S4_i
                                        ; -- End function
	.set _Z17testOperationsGPUI15HIP_vector_typeItLj2EES0_ItLj1EEEvPT_S4_i.num_vgpr, 3
	.set _Z17testOperationsGPUI15HIP_vector_typeItLj2EES0_ItLj1EEEvPT_S4_i.num_agpr, 0
	.set _Z17testOperationsGPUI15HIP_vector_typeItLj2EES0_ItLj1EEEvPT_S4_i.numbered_sgpr, 6
	.set _Z17testOperationsGPUI15HIP_vector_typeItLj2EES0_ItLj1EEEvPT_S4_i.num_named_barrier, 0
	.set _Z17testOperationsGPUI15HIP_vector_typeItLj2EES0_ItLj1EEEvPT_S4_i.private_seg_size, 0
	.set _Z17testOperationsGPUI15HIP_vector_typeItLj2EES0_ItLj1EEEvPT_S4_i.uses_vcc, 1
	.set _Z17testOperationsGPUI15HIP_vector_typeItLj2EES0_ItLj1EEEvPT_S4_i.uses_flat_scratch, 0
	.set _Z17testOperationsGPUI15HIP_vector_typeItLj2EES0_ItLj1EEEvPT_S4_i.has_dyn_sized_stack, 0
	.set _Z17testOperationsGPUI15HIP_vector_typeItLj2EES0_ItLj1EEEvPT_S4_i.has_recursion, 0
	.set _Z17testOperationsGPUI15HIP_vector_typeItLj2EES0_ItLj1EEEvPT_S4_i.has_indirect_call, 0
	.section	.AMDGPU.csdata,"",@progbits
; Kernel info:
; codeLenInByte = 136
; TotalNumSgprs: 10
; NumVgprs: 3
; ScratchSize: 0
; MemoryBound: 0
; FloatMode: 240
; IeeeMode: 1
; LDSByteSize: 0 bytes/workgroup (compile time only)
; SGPRBlocks: 1
; VGPRBlocks: 0
; NumSGPRsForWavesPerEU: 10
; NumVGPRsForWavesPerEU: 3
; Occupancy: 10
; WaveLimiterHint : 0
; COMPUTE_PGM_RSRC2:SCRATCH_EN: 0
; COMPUTE_PGM_RSRC2:USER_SGPR: 6
; COMPUTE_PGM_RSRC2:TRAP_HANDLER: 0
; COMPUTE_PGM_RSRC2:TGID_X_EN: 1
; COMPUTE_PGM_RSRC2:TGID_Y_EN: 0
; COMPUTE_PGM_RSRC2:TGID_Z_EN: 0
; COMPUTE_PGM_RSRC2:TIDIG_COMP_CNT: 0
	.section	.text._Z17testOperationsGPUI15HIP_vector_typeItLj3EES0_ItLj1EEEvPT_S4_i,"axG",@progbits,_Z17testOperationsGPUI15HIP_vector_typeItLj3EES0_ItLj1EEEvPT_S4_i,comdat
	.protected	_Z17testOperationsGPUI15HIP_vector_typeItLj3EES0_ItLj1EEEvPT_S4_i ; -- Begin function _Z17testOperationsGPUI15HIP_vector_typeItLj3EES0_ItLj1EEEvPT_S4_i
	.globl	_Z17testOperationsGPUI15HIP_vector_typeItLj3EES0_ItLj1EEEvPT_S4_i
	.p2align	8
	.type	_Z17testOperationsGPUI15HIP_vector_typeItLj3EES0_ItLj1EEEvPT_S4_i,@function
_Z17testOperationsGPUI15HIP_vector_typeItLj3EES0_ItLj1EEEvPT_S4_i: ; @_Z17testOperationsGPUI15HIP_vector_typeItLj3EES0_ItLj1EEEvPT_S4_i
; %bb.0:
	s_load_dword s0, s[4:5], 0x10
	s_waitcnt lgkmcnt(0)
	v_cmp_ge_i32_e32 vcc, s0, v0
	s_and_saveexec_b64 s[0:1], vcc
	s_cbranch_execz .LBB46_4
; %bb.1:
	s_load_dwordx4 s[0:3], s[4:5], 0x0
	s_waitcnt lgkmcnt(0)
	v_mov_b32_e32 v1, s2
	v_mov_b32_e32 v2, s3
	;; [unrolled: 1-line block ×4, first 2 shown]
	v_mad_u64_u32 v[2:3], s[0:1], v0, 6, v[1:2]
	v_mad_u64_u32 v[0:1], s[0:1], v0, 6, v[4:5]
	global_load_ushort v4, v[2:3], off
	global_load_ushort v5, v[0:1], off
	s_waitcnt vmcnt(0)
	v_add_u16_e32 v4, v4, v5
	v_add_u16_e32 v4, 1, v4
	global_store_short v[0:1], v4, off
	global_load_ushort v4, v[2:3], off
	v_mov_b32_e32 v5, 0
	s_waitcnt vmcnt(0)
	v_add_u16_e32 v7, 1, v4
	global_store_short v[0:1], v7, off offset:2
	global_load_ushort v6, v[2:3], off offset:2
	s_nop 0
	global_store_short v[2:3], v7, off
	s_waitcnt vmcnt(1)
	global_store_short v[0:1], v6, off
	v_cmp_ne_u16_e32 vcc, 0, v6
	s_and_saveexec_b64 s[0:1], vcc
	s_cbranch_execz .LBB46_3
; %bb.2:
	global_load_ushort v5, v[2:3], off
	v_cvt_f32_u32_sdwa v6, v6 dst_sel:DWORD dst_unused:UNUSED_PAD src0_sel:WORD_0
	v_rcp_iflag_f32_e32 v7, v6
	s_waitcnt vmcnt(0)
	v_cvt_f32_u32_e32 v5, v5
	v_mul_f32_e32 v7, v5, v7
	v_trunc_f32_e32 v7, v7
	v_cvt_u32_f32_e32 v8, v7
	v_mad_f32 v5, -v7, v6, v5
	v_cmp_ge_f32_e64 vcc, |v5|, v6
	v_addc_co_u32_e32 v5, vcc, 0, v8, vcc
	global_store_short v[2:3], v5, off
	global_load_ushort v5, v[0:1], off
.LBB46_3:
	s_or_b64 exec, exec, s[0:1]
	global_load_ushort v2, v[2:3], off offset:4
	s_mov_b32 s0, 0x5040100
	s_waitcnt vmcnt(0)
	v_mul_lo_u16_e32 v2, v2, v5
	v_perm_b32 v2, v4, v2, s0
	global_store_dword v[0:1], v2, off
.LBB46_4:
	s_endpgm
	.section	.rodata,"a",@progbits
	.p2align	6, 0x0
	.amdhsa_kernel _Z17testOperationsGPUI15HIP_vector_typeItLj3EES0_ItLj1EEEvPT_S4_i
		.amdhsa_group_segment_fixed_size 0
		.amdhsa_private_segment_fixed_size 0
		.amdhsa_kernarg_size 20
		.amdhsa_user_sgpr_count 6
		.amdhsa_user_sgpr_private_segment_buffer 1
		.amdhsa_user_sgpr_dispatch_ptr 0
		.amdhsa_user_sgpr_queue_ptr 0
		.amdhsa_user_sgpr_kernarg_segment_ptr 1
		.amdhsa_user_sgpr_dispatch_id 0
		.amdhsa_user_sgpr_flat_scratch_init 0
		.amdhsa_user_sgpr_private_segment_size 0
		.amdhsa_uses_dynamic_stack 0
		.amdhsa_system_sgpr_private_segment_wavefront_offset 0
		.amdhsa_system_sgpr_workgroup_id_x 1
		.amdhsa_system_sgpr_workgroup_id_y 0
		.amdhsa_system_sgpr_workgroup_id_z 0
		.amdhsa_system_sgpr_workgroup_info 0
		.amdhsa_system_vgpr_workitem_id 0
		.amdhsa_next_free_vgpr 9
		.amdhsa_next_free_sgpr 6
		.amdhsa_reserve_vcc 1
		.amdhsa_reserve_flat_scratch 0
		.amdhsa_float_round_mode_32 0
		.amdhsa_float_round_mode_16_64 0
		.amdhsa_float_denorm_mode_32 3
		.amdhsa_float_denorm_mode_16_64 3
		.amdhsa_dx10_clamp 1
		.amdhsa_ieee_mode 1
		.amdhsa_fp16_overflow 0
		.amdhsa_exception_fp_ieee_invalid_op 0
		.amdhsa_exception_fp_denorm_src 0
		.amdhsa_exception_fp_ieee_div_zero 0
		.amdhsa_exception_fp_ieee_overflow 0
		.amdhsa_exception_fp_ieee_underflow 0
		.amdhsa_exception_fp_ieee_inexact 0
		.amdhsa_exception_int_div_zero 0
	.end_amdhsa_kernel
	.section	.text._Z17testOperationsGPUI15HIP_vector_typeItLj3EES0_ItLj1EEEvPT_S4_i,"axG",@progbits,_Z17testOperationsGPUI15HIP_vector_typeItLj3EES0_ItLj1EEEvPT_S4_i,comdat
.Lfunc_end46:
	.size	_Z17testOperationsGPUI15HIP_vector_typeItLj3EES0_ItLj1EEEvPT_S4_i, .Lfunc_end46-_Z17testOperationsGPUI15HIP_vector_typeItLj3EES0_ItLj1EEEvPT_S4_i
                                        ; -- End function
	.set _Z17testOperationsGPUI15HIP_vector_typeItLj3EES0_ItLj1EEEvPT_S4_i.num_vgpr, 9
	.set _Z17testOperationsGPUI15HIP_vector_typeItLj3EES0_ItLj1EEEvPT_S4_i.num_agpr, 0
	.set _Z17testOperationsGPUI15HIP_vector_typeItLj3EES0_ItLj1EEEvPT_S4_i.numbered_sgpr, 6
	.set _Z17testOperationsGPUI15HIP_vector_typeItLj3EES0_ItLj1EEEvPT_S4_i.num_named_barrier, 0
	.set _Z17testOperationsGPUI15HIP_vector_typeItLj3EES0_ItLj1EEEvPT_S4_i.private_seg_size, 0
	.set _Z17testOperationsGPUI15HIP_vector_typeItLj3EES0_ItLj1EEEvPT_S4_i.uses_vcc, 1
	.set _Z17testOperationsGPUI15HIP_vector_typeItLj3EES0_ItLj1EEEvPT_S4_i.uses_flat_scratch, 0
	.set _Z17testOperationsGPUI15HIP_vector_typeItLj3EES0_ItLj1EEEvPT_S4_i.has_dyn_sized_stack, 0
	.set _Z17testOperationsGPUI15HIP_vector_typeItLj3EES0_ItLj1EEEvPT_S4_i.has_recursion, 0
	.set _Z17testOperationsGPUI15HIP_vector_typeItLj3EES0_ItLj1EEEvPT_S4_i.has_indirect_call, 0
	.section	.AMDGPU.csdata,"",@progbits
; Kernel info:
; codeLenInByte = 300
; TotalNumSgprs: 10
; NumVgprs: 9
; ScratchSize: 0
; MemoryBound: 0
; FloatMode: 240
; IeeeMode: 1
; LDSByteSize: 0 bytes/workgroup (compile time only)
; SGPRBlocks: 1
; VGPRBlocks: 2
; NumSGPRsForWavesPerEU: 10
; NumVGPRsForWavesPerEU: 9
; Occupancy: 10
; WaveLimiterHint : 0
; COMPUTE_PGM_RSRC2:SCRATCH_EN: 0
; COMPUTE_PGM_RSRC2:USER_SGPR: 6
; COMPUTE_PGM_RSRC2:TRAP_HANDLER: 0
; COMPUTE_PGM_RSRC2:TGID_X_EN: 1
; COMPUTE_PGM_RSRC2:TGID_Y_EN: 0
; COMPUTE_PGM_RSRC2:TGID_Z_EN: 0
; COMPUTE_PGM_RSRC2:TIDIG_COMP_CNT: 0
	.section	.text._Z17testOperationsGPUI15HIP_vector_typeItLj4EES0_ItLj1EEEvPT_S4_i,"axG",@progbits,_Z17testOperationsGPUI15HIP_vector_typeItLj4EES0_ItLj1EEEvPT_S4_i,comdat
	.protected	_Z17testOperationsGPUI15HIP_vector_typeItLj4EES0_ItLj1EEEvPT_S4_i ; -- Begin function _Z17testOperationsGPUI15HIP_vector_typeItLj4EES0_ItLj1EEEvPT_S4_i
	.globl	_Z17testOperationsGPUI15HIP_vector_typeItLj4EES0_ItLj1EEEvPT_S4_i
	.p2align	8
	.type	_Z17testOperationsGPUI15HIP_vector_typeItLj4EES0_ItLj1EEEvPT_S4_i,@function
_Z17testOperationsGPUI15HIP_vector_typeItLj4EES0_ItLj1EEEvPT_S4_i: ; @_Z17testOperationsGPUI15HIP_vector_typeItLj4EES0_ItLj1EEEvPT_S4_i
; %bb.0:
	s_load_dword s0, s[4:5], 0x10
	s_waitcnt lgkmcnt(0)
	v_cmp_ge_i32_e32 vcc, s0, v0
	s_and_saveexec_b64 s[0:1], vcc
	s_cbranch_execz .LBB47_4
; %bb.1:
	s_load_dwordx4 s[0:3], s[4:5], 0x0
	v_lshlrev_b32_e32 v7, 3, v0
	v_mov_b32_e32 v5, 0
	s_waitcnt lgkmcnt(0)
	global_load_ushort v0, v7, s[2:3]
	global_load_ushort v1, v7, s[0:1]
	v_mov_b32_e32 v3, s3
	s_waitcnt vmcnt(0)
	v_add_u16_e32 v0, v0, v1
	v_add_u16_e32 v0, 1, v0
	global_store_short v7, v0, s[0:1]
	global_load_ushort v4, v7, s[2:3]
	v_mov_b32_e32 v1, s1
	v_add_co_u32_e32 v0, vcc, s0, v7
	v_addc_co_u32_e32 v1, vcc, 0, v1, vcc
	v_add_co_u32_e32 v2, vcc, s2, v7
	v_addc_co_u32_e32 v3, vcc, 0, v3, vcc
	s_waitcnt vmcnt(0)
	v_add_u16_e32 v8, 1, v4
	global_store_short v7, v8, s[0:1] offset:2
	global_load_ushort v6, v7, s[2:3] offset:2
	s_nop 0
	global_store_short v7, v8, s[2:3]
	s_waitcnt vmcnt(1)
	global_store_short v7, v6, s[0:1]
	v_cmp_ne_u16_e32 vcc, 0, v6
	s_and_saveexec_b64 s[0:1], vcc
	s_cbranch_execz .LBB47_3
; %bb.2:
	global_load_ushort v5, v[2:3], off
	v_cvt_f32_u32_sdwa v6, v6 dst_sel:DWORD dst_unused:UNUSED_PAD src0_sel:WORD_0
	v_rcp_iflag_f32_e32 v7, v6
	s_waitcnt vmcnt(0)
	v_cvt_f32_u32_e32 v5, v5
	v_mul_f32_e32 v7, v5, v7
	v_trunc_f32_e32 v7, v7
	v_cvt_u32_f32_e32 v8, v7
	v_mad_f32 v5, -v7, v6, v5
	v_cmp_ge_f32_e64 vcc, |v5|, v6
	v_addc_co_u32_e32 v5, vcc, 0, v8, vcc
	global_store_short v[2:3], v5, off
	global_load_ushort v5, v[0:1], off
.LBB47_3:
	s_or_b64 exec, exec, s[0:1]
	global_load_ushort v6, v[2:3], off offset:4
	s_mov_b32 s0, 0x5040100
	s_waitcnt vmcnt(0)
	v_mul_lo_u16_e32 v5, v6, v5
	v_perm_b32 v4, v4, v5, s0
	global_store_dword v[0:1], v4, off
	global_store_short v[2:3], v5, off offset:6
	global_load_ushort v4, v[2:3], off offset:2
	s_nop 0
	global_load_ushort v5, v[0:1], off offset:6
	s_waitcnt vmcnt(0)
	v_sub_u16_e32 v2, v5, v4
	global_store_short v[0:1], v2, off offset:6
.LBB47_4:
	s_endpgm
	.section	.rodata,"a",@progbits
	.p2align	6, 0x0
	.amdhsa_kernel _Z17testOperationsGPUI15HIP_vector_typeItLj4EES0_ItLj1EEEvPT_S4_i
		.amdhsa_group_segment_fixed_size 0
		.amdhsa_private_segment_fixed_size 0
		.amdhsa_kernarg_size 20
		.amdhsa_user_sgpr_count 6
		.amdhsa_user_sgpr_private_segment_buffer 1
		.amdhsa_user_sgpr_dispatch_ptr 0
		.amdhsa_user_sgpr_queue_ptr 0
		.amdhsa_user_sgpr_kernarg_segment_ptr 1
		.amdhsa_user_sgpr_dispatch_id 0
		.amdhsa_user_sgpr_flat_scratch_init 0
		.amdhsa_user_sgpr_private_segment_size 0
		.amdhsa_uses_dynamic_stack 0
		.amdhsa_system_sgpr_private_segment_wavefront_offset 0
		.amdhsa_system_sgpr_workgroup_id_x 1
		.amdhsa_system_sgpr_workgroup_id_y 0
		.amdhsa_system_sgpr_workgroup_id_z 0
		.amdhsa_system_sgpr_workgroup_info 0
		.amdhsa_system_vgpr_workitem_id 0
		.amdhsa_next_free_vgpr 9
		.amdhsa_next_free_sgpr 6
		.amdhsa_reserve_vcc 1
		.amdhsa_reserve_flat_scratch 0
		.amdhsa_float_round_mode_32 0
		.amdhsa_float_round_mode_16_64 0
		.amdhsa_float_denorm_mode_32 3
		.amdhsa_float_denorm_mode_16_64 3
		.amdhsa_dx10_clamp 1
		.amdhsa_ieee_mode 1
		.amdhsa_fp16_overflow 0
		.amdhsa_exception_fp_ieee_invalid_op 0
		.amdhsa_exception_fp_denorm_src 0
		.amdhsa_exception_fp_ieee_div_zero 0
		.amdhsa_exception_fp_ieee_overflow 0
		.amdhsa_exception_fp_ieee_underflow 0
		.amdhsa_exception_fp_ieee_inexact 0
		.amdhsa_exception_int_div_zero 0
	.end_amdhsa_kernel
	.section	.text._Z17testOperationsGPUI15HIP_vector_typeItLj4EES0_ItLj1EEEvPT_S4_i,"axG",@progbits,_Z17testOperationsGPUI15HIP_vector_typeItLj4EES0_ItLj1EEEvPT_S4_i,comdat
.Lfunc_end47:
	.size	_Z17testOperationsGPUI15HIP_vector_typeItLj4EES0_ItLj1EEEvPT_S4_i, .Lfunc_end47-_Z17testOperationsGPUI15HIP_vector_typeItLj4EES0_ItLj1EEEvPT_S4_i
                                        ; -- End function
	.set _Z17testOperationsGPUI15HIP_vector_typeItLj4EES0_ItLj1EEEvPT_S4_i.num_vgpr, 9
	.set _Z17testOperationsGPUI15HIP_vector_typeItLj4EES0_ItLj1EEEvPT_S4_i.num_agpr, 0
	.set _Z17testOperationsGPUI15HIP_vector_typeItLj4EES0_ItLj1EEEvPT_S4_i.numbered_sgpr, 6
	.set _Z17testOperationsGPUI15HIP_vector_typeItLj4EES0_ItLj1EEEvPT_S4_i.num_named_barrier, 0
	.set _Z17testOperationsGPUI15HIP_vector_typeItLj4EES0_ItLj1EEEvPT_S4_i.private_seg_size, 0
	.set _Z17testOperationsGPUI15HIP_vector_typeItLj4EES0_ItLj1EEEvPT_S4_i.uses_vcc, 1
	.set _Z17testOperationsGPUI15HIP_vector_typeItLj4EES0_ItLj1EEEvPT_S4_i.uses_flat_scratch, 0
	.set _Z17testOperationsGPUI15HIP_vector_typeItLj4EES0_ItLj1EEEvPT_S4_i.has_dyn_sized_stack, 0
	.set _Z17testOperationsGPUI15HIP_vector_typeItLj4EES0_ItLj1EEEvPT_S4_i.has_recursion, 0
	.set _Z17testOperationsGPUI15HIP_vector_typeItLj4EES0_ItLj1EEEvPT_S4_i.has_indirect_call, 0
	.section	.AMDGPU.csdata,"",@progbits
; Kernel info:
; codeLenInByte = 340
; TotalNumSgprs: 10
; NumVgprs: 9
; ScratchSize: 0
; MemoryBound: 0
; FloatMode: 240
; IeeeMode: 1
; LDSByteSize: 0 bytes/workgroup (compile time only)
; SGPRBlocks: 1
; VGPRBlocks: 2
; NumSGPRsForWavesPerEU: 10
; NumVGPRsForWavesPerEU: 9
; Occupancy: 10
; WaveLimiterHint : 0
; COMPUTE_PGM_RSRC2:SCRATCH_EN: 0
; COMPUTE_PGM_RSRC2:USER_SGPR: 6
; COMPUTE_PGM_RSRC2:TRAP_HANDLER: 0
; COMPUTE_PGM_RSRC2:TGID_X_EN: 1
; COMPUTE_PGM_RSRC2:TGID_Y_EN: 0
; COMPUTE_PGM_RSRC2:TGID_Z_EN: 0
; COMPUTE_PGM_RSRC2:TIDIG_COMP_CNT: 0
	.section	.AMDGPU.gpr_maximums,"",@progbits
	.set amdgpu.max_num_vgpr, 0
	.set amdgpu.max_num_agpr, 0
	.set amdgpu.max_num_sgpr, 0
	.section	.AMDGPU.csdata,"",@progbits
	.type	__hip_cuid_7a459fdd852c172f,@object ; @__hip_cuid_7a459fdd852c172f
	.section	.bss,"aw",@nobits
	.globl	__hip_cuid_7a459fdd852c172f
__hip_cuid_7a459fdd852c172f:
	.byte	0                               ; 0x0
	.size	__hip_cuid_7a459fdd852c172f, 1

	.ident	"AMD clang version 22.0.0git (https://github.com/RadeonOpenCompute/llvm-project roc-7.2.4 26084 f58b06dce1f9c15707c5f808fd002e18c2accf7e)"
	.section	".note.GNU-stack","",@progbits
	.addrsig
	.addrsig_sym __hip_cuid_7a459fdd852c172f
	.amdgpu_metadata
---
amdhsa.kernels:
  - .args:
      - .address_space:  global
        .offset:         0
        .size:           8
        .value_kind:     global_buffer
      - .address_space:  global
        .offset:         8
        .size:           8
        .value_kind:     global_buffer
      - .offset:         16
        .size:           4
        .value_kind:     by_value
    .group_segment_fixed_size: 0
    .kernarg_segment_align: 8
    .kernarg_segment_size: 20
    .language:       OpenCL C
    .language_version:
      - 2
      - 0
    .max_flat_workgroup_size: 1024
    .name:           _Z17testOperationsGPUI15HIP_vector_typeIdLj1EES1_EvPT_S3_i
    .private_segment_fixed_size: 0
    .sgpr_count:     10
    .sgpr_spill_count: 0
    .symbol:         _Z17testOperationsGPUI15HIP_vector_typeIdLj1EES1_EvPT_S3_i.kd
    .uniform_work_group_size: 1
    .uses_dynamic_stack: false
    .vgpr_count:     5
    .vgpr_spill_count: 0
    .wavefront_size: 64
  - .args:
      - .address_space:  global
        .offset:         0
        .size:           8
        .value_kind:     global_buffer
      - .address_space:  global
        .offset:         8
        .size:           8
        .value_kind:     global_buffer
      - .offset:         16
        .size:           4
        .value_kind:     by_value
    .group_segment_fixed_size: 0
    .kernarg_segment_align: 8
    .kernarg_segment_size: 20
    .language:       OpenCL C
    .language_version:
      - 2
      - 0
    .max_flat_workgroup_size: 1024
    .name:           _Z17testOperationsGPUI15HIP_vector_typeIdLj2EES0_IdLj1EEEvPT_S4_i
    .private_segment_fixed_size: 0
    .sgpr_count:     10
    .sgpr_spill_count: 0
    .symbol:         _Z17testOperationsGPUI15HIP_vector_typeIdLj2EES0_IdLj1EEEvPT_S4_i.kd
    .uniform_work_group_size: 1
    .uses_dynamic_stack: false
    .vgpr_count:     5
    .vgpr_spill_count: 0
    .wavefront_size: 64
  - .args:
      - .address_space:  global
        .offset:         0
        .size:           8
        .value_kind:     global_buffer
      - .address_space:  global
        .offset:         8
        .size:           8
        .value_kind:     global_buffer
      - .offset:         16
        .size:           4
        .value_kind:     by_value
    .group_segment_fixed_size: 0
    .kernarg_segment_align: 8
    .kernarg_segment_size: 20
    .language:       OpenCL C
    .language_version:
      - 2
      - 0
    .max_flat_workgroup_size: 1024
    .name:           _Z17testOperationsGPUI15HIP_vector_typeIdLj3EES0_IdLj1EEEvPT_S4_i
    .private_segment_fixed_size: 0
    .sgpr_count:     10
    .sgpr_spill_count: 0
    .symbol:         _Z17testOperationsGPUI15HIP_vector_typeIdLj3EES0_IdLj1EEEvPT_S4_i.kd
    .uniform_work_group_size: 1
    .uses_dynamic_stack: false
    .vgpr_count:     18
    .vgpr_spill_count: 0
    .wavefront_size: 64
  - .args:
      - .address_space:  global
        .offset:         0
        .size:           8
        .value_kind:     global_buffer
      - .address_space:  global
        .offset:         8
        .size:           8
        .value_kind:     global_buffer
      - .offset:         16
        .size:           4
        .value_kind:     by_value
    .group_segment_fixed_size: 0
    .kernarg_segment_align: 8
    .kernarg_segment_size: 20
    .language:       OpenCL C
    .language_version:
      - 2
      - 0
    .max_flat_workgroup_size: 1024
    .name:           _Z17testOperationsGPUI15HIP_vector_typeIdLj4EES0_IdLj1EEEvPT_S4_i
    .private_segment_fixed_size: 0
    .sgpr_count:     12
    .sgpr_spill_count: 0
    .symbol:         _Z17testOperationsGPUI15HIP_vector_typeIdLj4EES0_IdLj1EEEvPT_S4_i.kd
    .uniform_work_group_size: 1
    .uses_dynamic_stack: false
    .vgpr_count:     18
    .vgpr_spill_count: 0
    .wavefront_size: 64
  - .args:
      - .address_space:  global
        .offset:         0
        .size:           8
        .value_kind:     global_buffer
      - .address_space:  global
        .offset:         8
        .size:           8
        .value_kind:     global_buffer
      - .offset:         16
        .size:           4
        .value_kind:     by_value
    .group_segment_fixed_size: 0
    .kernarg_segment_align: 8
    .kernarg_segment_size: 20
    .language:       OpenCL C
    .language_version:
      - 2
      - 0
    .max_flat_workgroup_size: 1024
    .name:           _Z17testOperationsGPUI15HIP_vector_typeIfLj1EES1_EvPT_S3_i
    .private_segment_fixed_size: 0
    .sgpr_count:     10
    .sgpr_spill_count: 0
    .symbol:         _Z17testOperationsGPUI15HIP_vector_typeIfLj1EES1_EvPT_S3_i.kd
    .uniform_work_group_size: 1
    .uses_dynamic_stack: false
    .vgpr_count:     3
    .vgpr_spill_count: 0
    .wavefront_size: 64
  - .args:
      - .address_space:  global
        .offset:         0
        .size:           8
        .value_kind:     global_buffer
      - .address_space:  global
        .offset:         8
        .size:           8
        .value_kind:     global_buffer
      - .offset:         16
        .size:           4
        .value_kind:     by_value
    .group_segment_fixed_size: 0
    .kernarg_segment_align: 8
    .kernarg_segment_size: 20
    .language:       OpenCL C
    .language_version:
      - 2
      - 0
    .max_flat_workgroup_size: 1024
    .name:           _Z17testOperationsGPUI15HIP_vector_typeIfLj2EES0_IfLj1EEEvPT_S4_i
    .private_segment_fixed_size: 0
    .sgpr_count:     10
    .sgpr_spill_count: 0
    .symbol:         _Z17testOperationsGPUI15HIP_vector_typeIfLj2EES0_IfLj1EEEvPT_S4_i.kd
    .uniform_work_group_size: 1
    .uses_dynamic_stack: false
    .vgpr_count:     3
    .vgpr_spill_count: 0
    .wavefront_size: 64
  - .args:
      - .address_space:  global
        .offset:         0
        .size:           8
        .value_kind:     global_buffer
      - .address_space:  global
        .offset:         8
        .size:           8
        .value_kind:     global_buffer
      - .offset:         16
        .size:           4
        .value_kind:     by_value
    .group_segment_fixed_size: 0
    .kernarg_segment_align: 8
    .kernarg_segment_size: 20
    .language:       OpenCL C
    .language_version:
      - 2
      - 0
    .max_flat_workgroup_size: 1024
    .name:           _Z17testOperationsGPUI15HIP_vector_typeIfLj3EES0_IfLj1EEEvPT_S4_i
    .private_segment_fixed_size: 0
    .sgpr_count:     10
    .sgpr_spill_count: 0
    .symbol:         _Z17testOperationsGPUI15HIP_vector_typeIfLj3EES0_IfLj1EEEvPT_S4_i.kd
    .uniform_work_group_size: 1
    .uses_dynamic_stack: false
    .vgpr_count:     12
    .vgpr_spill_count: 0
    .wavefront_size: 64
  - .args:
      - .address_space:  global
        .offset:         0
        .size:           8
        .value_kind:     global_buffer
      - .address_space:  global
        .offset:         8
        .size:           8
        .value_kind:     global_buffer
      - .offset:         16
        .size:           4
        .value_kind:     by_value
    .group_segment_fixed_size: 0
    .kernarg_segment_align: 8
    .kernarg_segment_size: 20
    .language:       OpenCL C
    .language_version:
      - 2
      - 0
    .max_flat_workgroup_size: 1024
    .name:           _Z17testOperationsGPUI15HIP_vector_typeIfLj4EES0_IfLj1EEEvPT_S4_i
    .private_segment_fixed_size: 0
    .sgpr_count:     10
    .sgpr_spill_count: 0
    .symbol:         _Z17testOperationsGPUI15HIP_vector_typeIfLj4EES0_IfLj1EEEvPT_S4_i.kd
    .uniform_work_group_size: 1
    .uses_dynamic_stack: false
    .vgpr_count:     12
    .vgpr_spill_count: 0
    .wavefront_size: 64
  - .args:
      - .address_space:  global
        .offset:         0
        .size:           8
        .value_kind:     global_buffer
      - .address_space:  global
        .offset:         8
        .size:           8
        .value_kind:     global_buffer
      - .offset:         16
        .size:           4
        .value_kind:     by_value
    .group_segment_fixed_size: 0
    .kernarg_segment_align: 8
    .kernarg_segment_size: 20
    .language:       OpenCL C
    .language_version:
      - 2
      - 0
    .max_flat_workgroup_size: 1024
    .name:           _Z17testOperationsGPUI15HIP_vector_typeIiLj1EES1_EvPT_S3_i
    .private_segment_fixed_size: 0
    .sgpr_count:     10
    .sgpr_spill_count: 0
    .symbol:         _Z17testOperationsGPUI15HIP_vector_typeIiLj1EES1_EvPT_S3_i.kd
    .uniform_work_group_size: 1
    .uses_dynamic_stack: false
    .vgpr_count:     3
    .vgpr_spill_count: 0
    .wavefront_size: 64
  - .args:
      - .address_space:  global
        .offset:         0
        .size:           8
        .value_kind:     global_buffer
      - .address_space:  global
        .offset:         8
        .size:           8
        .value_kind:     global_buffer
      - .offset:         16
        .size:           4
        .value_kind:     by_value
    .group_segment_fixed_size: 0
    .kernarg_segment_align: 8
    .kernarg_segment_size: 20
    .language:       OpenCL C
    .language_version:
      - 2
      - 0
    .max_flat_workgroup_size: 1024
    .name:           _Z17testOperationsGPUI15HIP_vector_typeIiLj2EES0_IiLj1EEEvPT_S4_i
    .private_segment_fixed_size: 0
    .sgpr_count:     10
    .sgpr_spill_count: 0
    .symbol:         _Z17testOperationsGPUI15HIP_vector_typeIiLj2EES0_IiLj1EEEvPT_S4_i.kd
    .uniform_work_group_size: 1
    .uses_dynamic_stack: false
    .vgpr_count:     3
    .vgpr_spill_count: 0
    .wavefront_size: 64
  - .args:
      - .address_space:  global
        .offset:         0
        .size:           8
        .value_kind:     global_buffer
      - .address_space:  global
        .offset:         8
        .size:           8
        .value_kind:     global_buffer
      - .offset:         16
        .size:           4
        .value_kind:     by_value
    .group_segment_fixed_size: 0
    .kernarg_segment_align: 8
    .kernarg_segment_size: 20
    .language:       OpenCL C
    .language_version:
      - 2
      - 0
    .max_flat_workgroup_size: 1024
    .name:           _Z17testOperationsGPUI15HIP_vector_typeIiLj3EES0_IiLj1EEEvPT_S4_i
    .private_segment_fixed_size: 0
    .sgpr_count:     10
    .sgpr_spill_count: 0
    .symbol:         _Z17testOperationsGPUI15HIP_vector_typeIiLj3EES0_IiLj1EEEvPT_S4_i.kd
    .uniform_work_group_size: 1
    .uses_dynamic_stack: false
    .vgpr_count:     11
    .vgpr_spill_count: 0
    .wavefront_size: 64
  - .args:
      - .address_space:  global
        .offset:         0
        .size:           8
        .value_kind:     global_buffer
      - .address_space:  global
        .offset:         8
        .size:           8
        .value_kind:     global_buffer
      - .offset:         16
        .size:           4
        .value_kind:     by_value
    .group_segment_fixed_size: 0
    .kernarg_segment_align: 8
    .kernarg_segment_size: 20
    .language:       OpenCL C
    .language_version:
      - 2
      - 0
    .max_flat_workgroup_size: 1024
    .name:           _Z17testOperationsGPUI15HIP_vector_typeIiLj4EES0_IiLj1EEEvPT_S4_i
    .private_segment_fixed_size: 0
    .sgpr_count:     10
    .sgpr_spill_count: 0
    .symbol:         _Z17testOperationsGPUI15HIP_vector_typeIiLj4EES0_IiLj1EEEvPT_S4_i.kd
    .uniform_work_group_size: 1
    .uses_dynamic_stack: false
    .vgpr_count:     11
    .vgpr_spill_count: 0
    .wavefront_size: 64
  - .args:
      - .address_space:  global
        .offset:         0
        .size:           8
        .value_kind:     global_buffer
      - .address_space:  global
        .offset:         8
        .size:           8
        .value_kind:     global_buffer
      - .offset:         16
        .size:           4
        .value_kind:     by_value
    .group_segment_fixed_size: 0
    .kernarg_segment_align: 8
    .kernarg_segment_size: 20
    .language:       OpenCL C
    .language_version:
      - 2
      - 0
    .max_flat_workgroup_size: 1024
    .name:           _Z17testOperationsGPUI15HIP_vector_typeIcLj1EES1_EvPT_S3_i
    .private_segment_fixed_size: 0
    .sgpr_count:     10
    .sgpr_spill_count: 0
    .symbol:         _Z17testOperationsGPUI15HIP_vector_typeIcLj1EES1_EvPT_S3_i.kd
    .uniform_work_group_size: 1
    .uses_dynamic_stack: false
    .vgpr_count:     3
    .vgpr_spill_count: 0
    .wavefront_size: 64
  - .args:
      - .address_space:  global
        .offset:         0
        .size:           8
        .value_kind:     global_buffer
      - .address_space:  global
        .offset:         8
        .size:           8
        .value_kind:     global_buffer
      - .offset:         16
        .size:           4
        .value_kind:     by_value
    .group_segment_fixed_size: 0
    .kernarg_segment_align: 8
    .kernarg_segment_size: 20
    .language:       OpenCL C
    .language_version:
      - 2
      - 0
    .max_flat_workgroup_size: 1024
    .name:           _Z17testOperationsGPUI15HIP_vector_typeIcLj2EES0_IcLj1EEEvPT_S4_i
    .private_segment_fixed_size: 0
    .sgpr_count:     10
    .sgpr_spill_count: 0
    .symbol:         _Z17testOperationsGPUI15HIP_vector_typeIcLj2EES0_IcLj1EEEvPT_S4_i.kd
    .uniform_work_group_size: 1
    .uses_dynamic_stack: false
    .vgpr_count:     3
    .vgpr_spill_count: 0
    .wavefront_size: 64
  - .args:
      - .address_space:  global
        .offset:         0
        .size:           8
        .value_kind:     global_buffer
      - .address_space:  global
        .offset:         8
        .size:           8
        .value_kind:     global_buffer
      - .offset:         16
        .size:           4
        .value_kind:     by_value
    .group_segment_fixed_size: 0
    .kernarg_segment_align: 8
    .kernarg_segment_size: 20
    .language:       OpenCL C
    .language_version:
      - 2
      - 0
    .max_flat_workgroup_size: 1024
    .name:           _Z17testOperationsGPUI15HIP_vector_typeIcLj3EES0_IcLj1EEEvPT_S4_i
    .private_segment_fixed_size: 0
    .sgpr_count:     10
    .sgpr_spill_count: 0
    .symbol:         _Z17testOperationsGPUI15HIP_vector_typeIcLj3EES0_IcLj1EEEvPT_S4_i.kd
    .uniform_work_group_size: 1
    .uses_dynamic_stack: false
    .vgpr_count:     10
    .vgpr_spill_count: 0
    .wavefront_size: 64
  - .args:
      - .address_space:  global
        .offset:         0
        .size:           8
        .value_kind:     global_buffer
      - .address_space:  global
        .offset:         8
        .size:           8
        .value_kind:     global_buffer
      - .offset:         16
        .size:           4
        .value_kind:     by_value
    .group_segment_fixed_size: 0
    .kernarg_segment_align: 8
    .kernarg_segment_size: 20
    .language:       OpenCL C
    .language_version:
      - 2
      - 0
    .max_flat_workgroup_size: 1024
    .name:           _Z17testOperationsGPUI15HIP_vector_typeIcLj4EES0_IcLj1EEEvPT_S4_i
    .private_segment_fixed_size: 0
    .sgpr_count:     10
    .sgpr_spill_count: 0
    .symbol:         _Z17testOperationsGPUI15HIP_vector_typeIcLj4EES0_IcLj1EEEvPT_S4_i.kd
    .uniform_work_group_size: 1
    .uses_dynamic_stack: false
    .vgpr_count:     10
    .vgpr_spill_count: 0
    .wavefront_size: 64
  - .args:
      - .address_space:  global
        .offset:         0
        .size:           8
        .value_kind:     global_buffer
      - .address_space:  global
        .offset:         8
        .size:           8
        .value_kind:     global_buffer
      - .offset:         16
        .size:           4
        .value_kind:     by_value
    .group_segment_fixed_size: 0
    .kernarg_segment_align: 8
    .kernarg_segment_size: 20
    .language:       OpenCL C
    .language_version:
      - 2
      - 0
    .max_flat_workgroup_size: 1024
    .name:           _Z17testOperationsGPUI15HIP_vector_typeIlLj1EES1_EvPT_S3_i
    .private_segment_fixed_size: 0
    .sgpr_count:     10
    .sgpr_spill_count: 0
    .symbol:         _Z17testOperationsGPUI15HIP_vector_typeIlLj1EES1_EvPT_S3_i.kd
    .uniform_work_group_size: 1
    .uses_dynamic_stack: false
    .vgpr_count:     5
    .vgpr_spill_count: 0
    .wavefront_size: 64
  - .args:
      - .address_space:  global
        .offset:         0
        .size:           8
        .value_kind:     global_buffer
      - .address_space:  global
        .offset:         8
        .size:           8
        .value_kind:     global_buffer
      - .offset:         16
        .size:           4
        .value_kind:     by_value
    .group_segment_fixed_size: 0
    .kernarg_segment_align: 8
    .kernarg_segment_size: 20
    .language:       OpenCL C
    .language_version:
      - 2
      - 0
    .max_flat_workgroup_size: 1024
    .name:           _Z17testOperationsGPUI15HIP_vector_typeIlLj2EES0_IlLj1EEEvPT_S4_i
    .private_segment_fixed_size: 0
    .sgpr_count:     10
    .sgpr_spill_count: 0
    .symbol:         _Z17testOperationsGPUI15HIP_vector_typeIlLj2EES0_IlLj1EEEvPT_S4_i.kd
    .uniform_work_group_size: 1
    .uses_dynamic_stack: false
    .vgpr_count:     5
    .vgpr_spill_count: 0
    .wavefront_size: 64
  - .args:
      - .address_space:  global
        .offset:         0
        .size:           8
        .value_kind:     global_buffer
      - .address_space:  global
        .offset:         8
        .size:           8
        .value_kind:     global_buffer
      - .offset:         16
        .size:           4
        .value_kind:     by_value
    .group_segment_fixed_size: 0
    .kernarg_segment_align: 8
    .kernarg_segment_size: 20
    .language:       OpenCL C
    .language_version:
      - 2
      - 0
    .max_flat_workgroup_size: 1024
    .name:           _Z17testOperationsGPUI15HIP_vector_typeIlLj3EES0_IlLj1EEEvPT_S4_i
    .private_segment_fixed_size: 0
    .sgpr_count:     10
    .sgpr_spill_count: 0
    .symbol:         _Z17testOperationsGPUI15HIP_vector_typeIlLj3EES0_IlLj1EEEvPT_S4_i.kd
    .uniform_work_group_size: 1
    .uses_dynamic_stack: false
    .vgpr_count:     21
    .vgpr_spill_count: 0
    .wavefront_size: 64
  - .args:
      - .address_space:  global
        .offset:         0
        .size:           8
        .value_kind:     global_buffer
      - .address_space:  global
        .offset:         8
        .size:           8
        .value_kind:     global_buffer
      - .offset:         16
        .size:           4
        .value_kind:     by_value
    .group_segment_fixed_size: 0
    .kernarg_segment_align: 8
    .kernarg_segment_size: 20
    .language:       OpenCL C
    .language_version:
      - 2
      - 0
    .max_flat_workgroup_size: 1024
    .name:           _Z17testOperationsGPUI15HIP_vector_typeIlLj4EES0_IlLj1EEEvPT_S4_i
    .private_segment_fixed_size: 0
    .sgpr_count:     10
    .sgpr_spill_count: 0
    .symbol:         _Z17testOperationsGPUI15HIP_vector_typeIlLj4EES0_IlLj1EEEvPT_S4_i.kd
    .uniform_work_group_size: 1
    .uses_dynamic_stack: false
    .vgpr_count:     21
    .vgpr_spill_count: 0
    .wavefront_size: 64
  - .args:
      - .address_space:  global
        .offset:         0
        .size:           8
        .value_kind:     global_buffer
      - .address_space:  global
        .offset:         8
        .size:           8
        .value_kind:     global_buffer
      - .offset:         16
        .size:           4
        .value_kind:     by_value
    .group_segment_fixed_size: 0
    .kernarg_segment_align: 8
    .kernarg_segment_size: 20
    .language:       OpenCL C
    .language_version:
      - 2
      - 0
    .max_flat_workgroup_size: 1024
    .name:           _Z17testOperationsGPUI15HIP_vector_typeIxLj1EES1_EvPT_S3_i
    .private_segment_fixed_size: 0
    .sgpr_count:     10
    .sgpr_spill_count: 0
    .symbol:         _Z17testOperationsGPUI15HIP_vector_typeIxLj1EES1_EvPT_S3_i.kd
    .uniform_work_group_size: 1
    .uses_dynamic_stack: false
    .vgpr_count:     5
    .vgpr_spill_count: 0
    .wavefront_size: 64
  - .args:
      - .address_space:  global
        .offset:         0
        .size:           8
        .value_kind:     global_buffer
      - .address_space:  global
        .offset:         8
        .size:           8
        .value_kind:     global_buffer
      - .offset:         16
        .size:           4
        .value_kind:     by_value
    .group_segment_fixed_size: 0
    .kernarg_segment_align: 8
    .kernarg_segment_size: 20
    .language:       OpenCL C
    .language_version:
      - 2
      - 0
    .max_flat_workgroup_size: 1024
    .name:           _Z17testOperationsGPUI15HIP_vector_typeIxLj2EES0_IxLj1EEEvPT_S4_i
    .private_segment_fixed_size: 0
    .sgpr_count:     10
    .sgpr_spill_count: 0
    .symbol:         _Z17testOperationsGPUI15HIP_vector_typeIxLj2EES0_IxLj1EEEvPT_S4_i.kd
    .uniform_work_group_size: 1
    .uses_dynamic_stack: false
    .vgpr_count:     5
    .vgpr_spill_count: 0
    .wavefront_size: 64
  - .args:
      - .address_space:  global
        .offset:         0
        .size:           8
        .value_kind:     global_buffer
      - .address_space:  global
        .offset:         8
        .size:           8
        .value_kind:     global_buffer
      - .offset:         16
        .size:           4
        .value_kind:     by_value
    .group_segment_fixed_size: 0
    .kernarg_segment_align: 8
    .kernarg_segment_size: 20
    .language:       OpenCL C
    .language_version:
      - 2
      - 0
    .max_flat_workgroup_size: 1024
    .name:           _Z17testOperationsGPUI15HIP_vector_typeIxLj3EES0_IxLj1EEEvPT_S4_i
    .private_segment_fixed_size: 0
    .sgpr_count:     10
    .sgpr_spill_count: 0
    .symbol:         _Z17testOperationsGPUI15HIP_vector_typeIxLj3EES0_IxLj1EEEvPT_S4_i.kd
    .uniform_work_group_size: 1
    .uses_dynamic_stack: false
    .vgpr_count:     21
    .vgpr_spill_count: 0
    .wavefront_size: 64
  - .args:
      - .address_space:  global
        .offset:         0
        .size:           8
        .value_kind:     global_buffer
      - .address_space:  global
        .offset:         8
        .size:           8
        .value_kind:     global_buffer
      - .offset:         16
        .size:           4
        .value_kind:     by_value
    .group_segment_fixed_size: 0
    .kernarg_segment_align: 8
    .kernarg_segment_size: 20
    .language:       OpenCL C
    .language_version:
      - 2
      - 0
    .max_flat_workgroup_size: 1024
    .name:           _Z17testOperationsGPUI15HIP_vector_typeIxLj4EES0_IxLj1EEEvPT_S4_i
    .private_segment_fixed_size: 0
    .sgpr_count:     10
    .sgpr_spill_count: 0
    .symbol:         _Z17testOperationsGPUI15HIP_vector_typeIxLj4EES0_IxLj1EEEvPT_S4_i.kd
    .uniform_work_group_size: 1
    .uses_dynamic_stack: false
    .vgpr_count:     21
    .vgpr_spill_count: 0
    .wavefront_size: 64
  - .args:
      - .address_space:  global
        .offset:         0
        .size:           8
        .value_kind:     global_buffer
      - .address_space:  global
        .offset:         8
        .size:           8
        .value_kind:     global_buffer
      - .offset:         16
        .size:           4
        .value_kind:     by_value
    .group_segment_fixed_size: 0
    .kernarg_segment_align: 8
    .kernarg_segment_size: 20
    .language:       OpenCL C
    .language_version:
      - 2
      - 0
    .max_flat_workgroup_size: 1024
    .name:           _Z17testOperationsGPUI15HIP_vector_typeIsLj1EES1_EvPT_S3_i
    .private_segment_fixed_size: 0
    .sgpr_count:     10
    .sgpr_spill_count: 0
    .symbol:         _Z17testOperationsGPUI15HIP_vector_typeIsLj1EES1_EvPT_S3_i.kd
    .uniform_work_group_size: 1
    .uses_dynamic_stack: false
    .vgpr_count:     3
    .vgpr_spill_count: 0
    .wavefront_size: 64
  - .args:
      - .address_space:  global
        .offset:         0
        .size:           8
        .value_kind:     global_buffer
      - .address_space:  global
        .offset:         8
        .size:           8
        .value_kind:     global_buffer
      - .offset:         16
        .size:           4
        .value_kind:     by_value
    .group_segment_fixed_size: 0
    .kernarg_segment_align: 8
    .kernarg_segment_size: 20
    .language:       OpenCL C
    .language_version:
      - 2
      - 0
    .max_flat_workgroup_size: 1024
    .name:           _Z17testOperationsGPUI15HIP_vector_typeIsLj2EES0_IsLj1EEEvPT_S4_i
    .private_segment_fixed_size: 0
    .sgpr_count:     10
    .sgpr_spill_count: 0
    .symbol:         _Z17testOperationsGPUI15HIP_vector_typeIsLj2EES0_IsLj1EEEvPT_S4_i.kd
    .uniform_work_group_size: 1
    .uses_dynamic_stack: false
    .vgpr_count:     3
    .vgpr_spill_count: 0
    .wavefront_size: 64
  - .args:
      - .address_space:  global
        .offset:         0
        .size:           8
        .value_kind:     global_buffer
      - .address_space:  global
        .offset:         8
        .size:           8
        .value_kind:     global_buffer
      - .offset:         16
        .size:           4
        .value_kind:     by_value
    .group_segment_fixed_size: 0
    .kernarg_segment_align: 8
    .kernarg_segment_size: 20
    .language:       OpenCL C
    .language_version:
      - 2
      - 0
    .max_flat_workgroup_size: 1024
    .name:           _Z17testOperationsGPUI15HIP_vector_typeIsLj3EES0_IsLj1EEEvPT_S4_i
    .private_segment_fixed_size: 0
    .sgpr_count:     10
    .sgpr_spill_count: 0
    .symbol:         _Z17testOperationsGPUI15HIP_vector_typeIsLj3EES0_IsLj1EEEvPT_S4_i.kd
    .uniform_work_group_size: 1
    .uses_dynamic_stack: false
    .vgpr_count:     10
    .vgpr_spill_count: 0
    .wavefront_size: 64
  - .args:
      - .address_space:  global
        .offset:         0
        .size:           8
        .value_kind:     global_buffer
      - .address_space:  global
        .offset:         8
        .size:           8
        .value_kind:     global_buffer
      - .offset:         16
        .size:           4
        .value_kind:     by_value
    .group_segment_fixed_size: 0
    .kernarg_segment_align: 8
    .kernarg_segment_size: 20
    .language:       OpenCL C
    .language_version:
      - 2
      - 0
    .max_flat_workgroup_size: 1024
    .name:           _Z17testOperationsGPUI15HIP_vector_typeIsLj4EES0_IsLj1EEEvPT_S4_i
    .private_segment_fixed_size: 0
    .sgpr_count:     10
    .sgpr_spill_count: 0
    .symbol:         _Z17testOperationsGPUI15HIP_vector_typeIsLj4EES0_IsLj1EEEvPT_S4_i.kd
    .uniform_work_group_size: 1
    .uses_dynamic_stack: false
    .vgpr_count:     10
    .vgpr_spill_count: 0
    .wavefront_size: 64
  - .args:
      - .address_space:  global
        .offset:         0
        .size:           8
        .value_kind:     global_buffer
      - .address_space:  global
        .offset:         8
        .size:           8
        .value_kind:     global_buffer
      - .offset:         16
        .size:           4
        .value_kind:     by_value
    .group_segment_fixed_size: 0
    .kernarg_segment_align: 8
    .kernarg_segment_size: 20
    .language:       OpenCL C
    .language_version:
      - 2
      - 0
    .max_flat_workgroup_size: 1024
    .name:           _Z17testOperationsGPUI15HIP_vector_typeIjLj1EES1_EvPT_S3_i
    .private_segment_fixed_size: 0
    .sgpr_count:     10
    .sgpr_spill_count: 0
    .symbol:         _Z17testOperationsGPUI15HIP_vector_typeIjLj1EES1_EvPT_S3_i.kd
    .uniform_work_group_size: 1
    .uses_dynamic_stack: false
    .vgpr_count:     3
    .vgpr_spill_count: 0
    .wavefront_size: 64
  - .args:
      - .address_space:  global
        .offset:         0
        .size:           8
        .value_kind:     global_buffer
      - .address_space:  global
        .offset:         8
        .size:           8
        .value_kind:     global_buffer
      - .offset:         16
        .size:           4
        .value_kind:     by_value
    .group_segment_fixed_size: 0
    .kernarg_segment_align: 8
    .kernarg_segment_size: 20
    .language:       OpenCL C
    .language_version:
      - 2
      - 0
    .max_flat_workgroup_size: 1024
    .name:           _Z17testOperationsGPUI15HIP_vector_typeIjLj2EES0_IjLj1EEEvPT_S4_i
    .private_segment_fixed_size: 0
    .sgpr_count:     10
    .sgpr_spill_count: 0
    .symbol:         _Z17testOperationsGPUI15HIP_vector_typeIjLj2EES0_IjLj1EEEvPT_S4_i.kd
    .uniform_work_group_size: 1
    .uses_dynamic_stack: false
    .vgpr_count:     3
    .vgpr_spill_count: 0
    .wavefront_size: 64
  - .args:
      - .address_space:  global
        .offset:         0
        .size:           8
        .value_kind:     global_buffer
      - .address_space:  global
        .offset:         8
        .size:           8
        .value_kind:     global_buffer
      - .offset:         16
        .size:           4
        .value_kind:     by_value
    .group_segment_fixed_size: 0
    .kernarg_segment_align: 8
    .kernarg_segment_size: 20
    .language:       OpenCL C
    .language_version:
      - 2
      - 0
    .max_flat_workgroup_size: 1024
    .name:           _Z17testOperationsGPUI15HIP_vector_typeIjLj3EES0_IjLj1EEEvPT_S4_i
    .private_segment_fixed_size: 0
    .sgpr_count:     10
    .sgpr_spill_count: 0
    .symbol:         _Z17testOperationsGPUI15HIP_vector_typeIjLj3EES0_IjLj1EEEvPT_S4_i.kd
    .uniform_work_group_size: 1
    .uses_dynamic_stack: false
    .vgpr_count:     10
    .vgpr_spill_count: 0
    .wavefront_size: 64
  - .args:
      - .address_space:  global
        .offset:         0
        .size:           8
        .value_kind:     global_buffer
      - .address_space:  global
        .offset:         8
        .size:           8
        .value_kind:     global_buffer
      - .offset:         16
        .size:           4
        .value_kind:     by_value
    .group_segment_fixed_size: 0
    .kernarg_segment_align: 8
    .kernarg_segment_size: 20
    .language:       OpenCL C
    .language_version:
      - 2
      - 0
    .max_flat_workgroup_size: 1024
    .name:           _Z17testOperationsGPUI15HIP_vector_typeIjLj4EES0_IjLj1EEEvPT_S4_i
    .private_segment_fixed_size: 0
    .sgpr_count:     10
    .sgpr_spill_count: 0
    .symbol:         _Z17testOperationsGPUI15HIP_vector_typeIjLj4EES0_IjLj1EEEvPT_S4_i.kd
    .uniform_work_group_size: 1
    .uses_dynamic_stack: false
    .vgpr_count:     10
    .vgpr_spill_count: 0
    .wavefront_size: 64
  - .args:
      - .address_space:  global
        .offset:         0
        .size:           8
        .value_kind:     global_buffer
      - .address_space:  global
        .offset:         8
        .size:           8
        .value_kind:     global_buffer
      - .offset:         16
        .size:           4
        .value_kind:     by_value
    .group_segment_fixed_size: 0
    .kernarg_segment_align: 8
    .kernarg_segment_size: 20
    .language:       OpenCL C
    .language_version:
      - 2
      - 0
    .max_flat_workgroup_size: 1024
    .name:           _Z17testOperationsGPUI15HIP_vector_typeIhLj1EES1_EvPT_S3_i
    .private_segment_fixed_size: 0
    .sgpr_count:     10
    .sgpr_spill_count: 0
    .symbol:         _Z17testOperationsGPUI15HIP_vector_typeIhLj1EES1_EvPT_S3_i.kd
    .uniform_work_group_size: 1
    .uses_dynamic_stack: false
    .vgpr_count:     3
    .vgpr_spill_count: 0
    .wavefront_size: 64
  - .args:
      - .address_space:  global
        .offset:         0
        .size:           8
        .value_kind:     global_buffer
      - .address_space:  global
        .offset:         8
        .size:           8
        .value_kind:     global_buffer
      - .offset:         16
        .size:           4
        .value_kind:     by_value
    .group_segment_fixed_size: 0
    .kernarg_segment_align: 8
    .kernarg_segment_size: 20
    .language:       OpenCL C
    .language_version:
      - 2
      - 0
    .max_flat_workgroup_size: 1024
    .name:           _Z17testOperationsGPUI15HIP_vector_typeIhLj2EES0_IhLj1EEEvPT_S4_i
    .private_segment_fixed_size: 0
    .sgpr_count:     10
    .sgpr_spill_count: 0
    .symbol:         _Z17testOperationsGPUI15HIP_vector_typeIhLj2EES0_IhLj1EEEvPT_S4_i.kd
    .uniform_work_group_size: 1
    .uses_dynamic_stack: false
    .vgpr_count:     3
    .vgpr_spill_count: 0
    .wavefront_size: 64
  - .args:
      - .address_space:  global
        .offset:         0
        .size:           8
        .value_kind:     global_buffer
      - .address_space:  global
        .offset:         8
        .size:           8
        .value_kind:     global_buffer
      - .offset:         16
        .size:           4
        .value_kind:     by_value
    .group_segment_fixed_size: 0
    .kernarg_segment_align: 8
    .kernarg_segment_size: 20
    .language:       OpenCL C
    .language_version:
      - 2
      - 0
    .max_flat_workgroup_size: 1024
    .name:           _Z17testOperationsGPUI15HIP_vector_typeIhLj3EES0_IhLj1EEEvPT_S4_i
    .private_segment_fixed_size: 0
    .sgpr_count:     10
    .sgpr_spill_count: 0
    .symbol:         _Z17testOperationsGPUI15HIP_vector_typeIhLj3EES0_IhLj1EEEvPT_S4_i.kd
    .uniform_work_group_size: 1
    .uses_dynamic_stack: false
    .vgpr_count:     9
    .vgpr_spill_count: 0
    .wavefront_size: 64
  - .args:
      - .address_space:  global
        .offset:         0
        .size:           8
        .value_kind:     global_buffer
      - .address_space:  global
        .offset:         8
        .size:           8
        .value_kind:     global_buffer
      - .offset:         16
        .size:           4
        .value_kind:     by_value
    .group_segment_fixed_size: 0
    .kernarg_segment_align: 8
    .kernarg_segment_size: 20
    .language:       OpenCL C
    .language_version:
      - 2
      - 0
    .max_flat_workgroup_size: 1024
    .name:           _Z17testOperationsGPUI15HIP_vector_typeIhLj4EES0_IhLj1EEEvPT_S4_i
    .private_segment_fixed_size: 0
    .sgpr_count:     10
    .sgpr_spill_count: 0
    .symbol:         _Z17testOperationsGPUI15HIP_vector_typeIhLj4EES0_IhLj1EEEvPT_S4_i.kd
    .uniform_work_group_size: 1
    .uses_dynamic_stack: false
    .vgpr_count:     9
    .vgpr_spill_count: 0
    .wavefront_size: 64
  - .args:
      - .address_space:  global
        .offset:         0
        .size:           8
        .value_kind:     global_buffer
      - .address_space:  global
        .offset:         8
        .size:           8
        .value_kind:     global_buffer
      - .offset:         16
        .size:           4
        .value_kind:     by_value
    .group_segment_fixed_size: 0
    .kernarg_segment_align: 8
    .kernarg_segment_size: 20
    .language:       OpenCL C
    .language_version:
      - 2
      - 0
    .max_flat_workgroup_size: 1024
    .name:           _Z17testOperationsGPUI15HIP_vector_typeImLj1EES1_EvPT_S3_i
    .private_segment_fixed_size: 0
    .sgpr_count:     10
    .sgpr_spill_count: 0
    .symbol:         _Z17testOperationsGPUI15HIP_vector_typeImLj1EES1_EvPT_S3_i.kd
    .uniform_work_group_size: 1
    .uses_dynamic_stack: false
    .vgpr_count:     5
    .vgpr_spill_count: 0
    .wavefront_size: 64
  - .args:
      - .address_space:  global
        .offset:         0
        .size:           8
        .value_kind:     global_buffer
      - .address_space:  global
        .offset:         8
        .size:           8
        .value_kind:     global_buffer
      - .offset:         16
        .size:           4
        .value_kind:     by_value
    .group_segment_fixed_size: 0
    .kernarg_segment_align: 8
    .kernarg_segment_size: 20
    .language:       OpenCL C
    .language_version:
      - 2
      - 0
    .max_flat_workgroup_size: 1024
    .name:           _Z17testOperationsGPUI15HIP_vector_typeImLj2EES0_ImLj1EEEvPT_S4_i
    .private_segment_fixed_size: 0
    .sgpr_count:     10
    .sgpr_spill_count: 0
    .symbol:         _Z17testOperationsGPUI15HIP_vector_typeImLj2EES0_ImLj1EEEvPT_S4_i.kd
    .uniform_work_group_size: 1
    .uses_dynamic_stack: false
    .vgpr_count:     5
    .vgpr_spill_count: 0
    .wavefront_size: 64
  - .args:
      - .address_space:  global
        .offset:         0
        .size:           8
        .value_kind:     global_buffer
      - .address_space:  global
        .offset:         8
        .size:           8
        .value_kind:     global_buffer
      - .offset:         16
        .size:           4
        .value_kind:     by_value
    .group_segment_fixed_size: 0
    .kernarg_segment_align: 8
    .kernarg_segment_size: 20
    .language:       OpenCL C
    .language_version:
      - 2
      - 0
    .max_flat_workgroup_size: 1024
    .name:           _Z17testOperationsGPUI15HIP_vector_typeImLj3EES0_ImLj1EEEvPT_S4_i
    .private_segment_fixed_size: 0
    .sgpr_count:     10
    .sgpr_spill_count: 0
    .symbol:         _Z17testOperationsGPUI15HIP_vector_typeImLj3EES0_ImLj1EEEvPT_S4_i.kd
    .uniform_work_group_size: 1
    .uses_dynamic_stack: false
    .vgpr_count:     20
    .vgpr_spill_count: 0
    .wavefront_size: 64
  - .args:
      - .address_space:  global
        .offset:         0
        .size:           8
        .value_kind:     global_buffer
      - .address_space:  global
        .offset:         8
        .size:           8
        .value_kind:     global_buffer
      - .offset:         16
        .size:           4
        .value_kind:     by_value
    .group_segment_fixed_size: 0
    .kernarg_segment_align: 8
    .kernarg_segment_size: 20
    .language:       OpenCL C
    .language_version:
      - 2
      - 0
    .max_flat_workgroup_size: 1024
    .name:           _Z17testOperationsGPUI15HIP_vector_typeImLj4EES0_ImLj1EEEvPT_S4_i
    .private_segment_fixed_size: 0
    .sgpr_count:     10
    .sgpr_spill_count: 0
    .symbol:         _Z17testOperationsGPUI15HIP_vector_typeImLj4EES0_ImLj1EEEvPT_S4_i.kd
    .uniform_work_group_size: 1
    .uses_dynamic_stack: false
    .vgpr_count:     20
    .vgpr_spill_count: 0
    .wavefront_size: 64
  - .args:
      - .address_space:  global
        .offset:         0
        .size:           8
        .value_kind:     global_buffer
      - .address_space:  global
        .offset:         8
        .size:           8
        .value_kind:     global_buffer
      - .offset:         16
        .size:           4
        .value_kind:     by_value
    .group_segment_fixed_size: 0
    .kernarg_segment_align: 8
    .kernarg_segment_size: 20
    .language:       OpenCL C
    .language_version:
      - 2
      - 0
    .max_flat_workgroup_size: 1024
    .name:           _Z17testOperationsGPUI15HIP_vector_typeIyLj1EES1_EvPT_S3_i
    .private_segment_fixed_size: 0
    .sgpr_count:     10
    .sgpr_spill_count: 0
    .symbol:         _Z17testOperationsGPUI15HIP_vector_typeIyLj1EES1_EvPT_S3_i.kd
    .uniform_work_group_size: 1
    .uses_dynamic_stack: false
    .vgpr_count:     5
    .vgpr_spill_count: 0
    .wavefront_size: 64
  - .args:
      - .address_space:  global
        .offset:         0
        .size:           8
        .value_kind:     global_buffer
      - .address_space:  global
        .offset:         8
        .size:           8
        .value_kind:     global_buffer
      - .offset:         16
        .size:           4
        .value_kind:     by_value
    .group_segment_fixed_size: 0
    .kernarg_segment_align: 8
    .kernarg_segment_size: 20
    .language:       OpenCL C
    .language_version:
      - 2
      - 0
    .max_flat_workgroup_size: 1024
    .name:           _Z17testOperationsGPUI15HIP_vector_typeIyLj2EES0_IyLj1EEEvPT_S4_i
    .private_segment_fixed_size: 0
    .sgpr_count:     10
    .sgpr_spill_count: 0
    .symbol:         _Z17testOperationsGPUI15HIP_vector_typeIyLj2EES0_IyLj1EEEvPT_S4_i.kd
    .uniform_work_group_size: 1
    .uses_dynamic_stack: false
    .vgpr_count:     5
    .vgpr_spill_count: 0
    .wavefront_size: 64
  - .args:
      - .address_space:  global
        .offset:         0
        .size:           8
        .value_kind:     global_buffer
      - .address_space:  global
        .offset:         8
        .size:           8
        .value_kind:     global_buffer
      - .offset:         16
        .size:           4
        .value_kind:     by_value
    .group_segment_fixed_size: 0
    .kernarg_segment_align: 8
    .kernarg_segment_size: 20
    .language:       OpenCL C
    .language_version:
      - 2
      - 0
    .max_flat_workgroup_size: 1024
    .name:           _Z17testOperationsGPUI15HIP_vector_typeIyLj3EES0_IyLj1EEEvPT_S4_i
    .private_segment_fixed_size: 0
    .sgpr_count:     10
    .sgpr_spill_count: 0
    .symbol:         _Z17testOperationsGPUI15HIP_vector_typeIyLj3EES0_IyLj1EEEvPT_S4_i.kd
    .uniform_work_group_size: 1
    .uses_dynamic_stack: false
    .vgpr_count:     20
    .vgpr_spill_count: 0
    .wavefront_size: 64
  - .args:
      - .address_space:  global
        .offset:         0
        .size:           8
        .value_kind:     global_buffer
      - .address_space:  global
        .offset:         8
        .size:           8
        .value_kind:     global_buffer
      - .offset:         16
        .size:           4
        .value_kind:     by_value
    .group_segment_fixed_size: 0
    .kernarg_segment_align: 8
    .kernarg_segment_size: 20
    .language:       OpenCL C
    .language_version:
      - 2
      - 0
    .max_flat_workgroup_size: 1024
    .name:           _Z17testOperationsGPUI15HIP_vector_typeIyLj4EES0_IyLj1EEEvPT_S4_i
    .private_segment_fixed_size: 0
    .sgpr_count:     10
    .sgpr_spill_count: 0
    .symbol:         _Z17testOperationsGPUI15HIP_vector_typeIyLj4EES0_IyLj1EEEvPT_S4_i.kd
    .uniform_work_group_size: 1
    .uses_dynamic_stack: false
    .vgpr_count:     20
    .vgpr_spill_count: 0
    .wavefront_size: 64
  - .args:
      - .address_space:  global
        .offset:         0
        .size:           8
        .value_kind:     global_buffer
      - .address_space:  global
        .offset:         8
        .size:           8
        .value_kind:     global_buffer
      - .offset:         16
        .size:           4
        .value_kind:     by_value
    .group_segment_fixed_size: 0
    .kernarg_segment_align: 8
    .kernarg_segment_size: 20
    .language:       OpenCL C
    .language_version:
      - 2
      - 0
    .max_flat_workgroup_size: 1024
    .name:           _Z17testOperationsGPUI15HIP_vector_typeItLj1EES1_EvPT_S3_i
    .private_segment_fixed_size: 0
    .sgpr_count:     10
    .sgpr_spill_count: 0
    .symbol:         _Z17testOperationsGPUI15HIP_vector_typeItLj1EES1_EvPT_S3_i.kd
    .uniform_work_group_size: 1
    .uses_dynamic_stack: false
    .vgpr_count:     3
    .vgpr_spill_count: 0
    .wavefront_size: 64
  - .args:
      - .address_space:  global
        .offset:         0
        .size:           8
        .value_kind:     global_buffer
      - .address_space:  global
        .offset:         8
        .size:           8
        .value_kind:     global_buffer
      - .offset:         16
        .size:           4
        .value_kind:     by_value
    .group_segment_fixed_size: 0
    .kernarg_segment_align: 8
    .kernarg_segment_size: 20
    .language:       OpenCL C
    .language_version:
      - 2
      - 0
    .max_flat_workgroup_size: 1024
    .name:           _Z17testOperationsGPUI15HIP_vector_typeItLj2EES0_ItLj1EEEvPT_S4_i
    .private_segment_fixed_size: 0
    .sgpr_count:     10
    .sgpr_spill_count: 0
    .symbol:         _Z17testOperationsGPUI15HIP_vector_typeItLj2EES0_ItLj1EEEvPT_S4_i.kd
    .uniform_work_group_size: 1
    .uses_dynamic_stack: false
    .vgpr_count:     3
    .vgpr_spill_count: 0
    .wavefront_size: 64
  - .args:
      - .address_space:  global
        .offset:         0
        .size:           8
        .value_kind:     global_buffer
      - .address_space:  global
        .offset:         8
        .size:           8
        .value_kind:     global_buffer
      - .offset:         16
        .size:           4
        .value_kind:     by_value
    .group_segment_fixed_size: 0
    .kernarg_segment_align: 8
    .kernarg_segment_size: 20
    .language:       OpenCL C
    .language_version:
      - 2
      - 0
    .max_flat_workgroup_size: 1024
    .name:           _Z17testOperationsGPUI15HIP_vector_typeItLj3EES0_ItLj1EEEvPT_S4_i
    .private_segment_fixed_size: 0
    .sgpr_count:     10
    .sgpr_spill_count: 0
    .symbol:         _Z17testOperationsGPUI15HIP_vector_typeItLj3EES0_ItLj1EEEvPT_S4_i.kd
    .uniform_work_group_size: 1
    .uses_dynamic_stack: false
    .vgpr_count:     9
    .vgpr_spill_count: 0
    .wavefront_size: 64
  - .args:
      - .address_space:  global
        .offset:         0
        .size:           8
        .value_kind:     global_buffer
      - .address_space:  global
        .offset:         8
        .size:           8
        .value_kind:     global_buffer
      - .offset:         16
        .size:           4
        .value_kind:     by_value
    .group_segment_fixed_size: 0
    .kernarg_segment_align: 8
    .kernarg_segment_size: 20
    .language:       OpenCL C
    .language_version:
      - 2
      - 0
    .max_flat_workgroup_size: 1024
    .name:           _Z17testOperationsGPUI15HIP_vector_typeItLj4EES0_ItLj1EEEvPT_S4_i
    .private_segment_fixed_size: 0
    .sgpr_count:     10
    .sgpr_spill_count: 0
    .symbol:         _Z17testOperationsGPUI15HIP_vector_typeItLj4EES0_ItLj1EEEvPT_S4_i.kd
    .uniform_work_group_size: 1
    .uses_dynamic_stack: false
    .vgpr_count:     9
    .vgpr_spill_count: 0
    .wavefront_size: 64
amdhsa.target:   amdgcn-amd-amdhsa--gfx906
amdhsa.version:
  - 1
  - 2
...

	.end_amdgpu_metadata
